;; amdgpu-corpus repo=ROCm/rocFFT kind=compiled arch=gfx906 opt=O3
	.text
	.amdgcn_target "amdgcn-amd-amdhsa--gfx906"
	.amdhsa_code_object_version 6
	.protected	fft_rtc_back_len1200_factors_5_5_16_3_wgs_225_tpt_75_halfLds_dp_ip_CI_unitstride_sbrr_C2R_dirReg ; -- Begin function fft_rtc_back_len1200_factors_5_5_16_3_wgs_225_tpt_75_halfLds_dp_ip_CI_unitstride_sbrr_C2R_dirReg
	.globl	fft_rtc_back_len1200_factors_5_5_16_3_wgs_225_tpt_75_halfLds_dp_ip_CI_unitstride_sbrr_C2R_dirReg
	.p2align	8
	.type	fft_rtc_back_len1200_factors_5_5_16_3_wgs_225_tpt_75_halfLds_dp_ip_CI_unitstride_sbrr_C2R_dirReg,@function
fft_rtc_back_len1200_factors_5_5_16_3_wgs_225_tpt_75_halfLds_dp_ip_CI_unitstride_sbrr_C2R_dirReg: ; @fft_rtc_back_len1200_factors_5_5_16_3_wgs_225_tpt_75_halfLds_dp_ip_CI_unitstride_sbrr_C2R_dirReg
; %bb.0:
	s_load_dwordx2 s[12:13], s[4:5], 0x50
	s_load_dwordx4 s[8:11], s[4:5], 0x0
	s_load_dwordx2 s[2:3], s[4:5], 0x18
	v_mul_u32_u24_e32 v1, 0x36a, v0
	v_lshrrev_b32_e32 v1, 16, v1
	v_mad_u64_u32 v[1:2], s[0:1], s6, 3, v[1:2]
	v_mov_b32_e32 v5, 0
	s_waitcnt lgkmcnt(0)
	v_cmp_lt_u64_e64 s[0:1], s[10:11], 2
	v_mov_b32_e32 v2, v5
	v_mov_b32_e32 v3, 0
	;; [unrolled: 1-line block ×3, first 2 shown]
	s_and_b64 vcc, exec, s[0:1]
	v_mov_b32_e32 v4, 0
	v_mov_b32_e32 v9, v1
	s_cbranch_vccnz .LBB0_8
; %bb.1:
	s_load_dwordx2 s[0:1], s[4:5], 0x10
	s_add_u32 s6, s2, 8
	s_addc_u32 s7, s3, 0
	v_mov_b32_e32 v3, 0
	v_mov_b32_e32 v8, v2
	s_waitcnt lgkmcnt(0)
	s_add_u32 s16, s0, 8
	s_mov_b64 s[14:15], 1
	v_mov_b32_e32 v4, 0
	s_addc_u32 s17, s1, 0
	v_mov_b32_e32 v7, v1
.LBB0_2:                                ; =>This Inner Loop Header: Depth=1
	s_load_dwordx2 s[18:19], s[16:17], 0x0
                                        ; implicit-def: $vgpr9_vgpr10
	s_waitcnt lgkmcnt(0)
	v_or_b32_e32 v6, s19, v8
	v_cmp_ne_u64_e32 vcc, 0, v[5:6]
	s_and_saveexec_b64 s[0:1], vcc
	s_xor_b64 s[20:21], exec, s[0:1]
	s_cbranch_execz .LBB0_4
; %bb.3:                                ;   in Loop: Header=BB0_2 Depth=1
	v_cvt_f32_u32_e32 v2, s18
	v_cvt_f32_u32_e32 v6, s19
	s_sub_u32 s0, 0, s18
	s_subb_u32 s1, 0, s19
	v_mac_f32_e32 v2, 0x4f800000, v6
	v_rcp_f32_e32 v2, v2
	v_mul_f32_e32 v2, 0x5f7ffffc, v2
	v_mul_f32_e32 v6, 0x2f800000, v2
	v_trunc_f32_e32 v6, v6
	v_mac_f32_e32 v2, 0xcf800000, v6
	v_cvt_u32_f32_e32 v6, v6
	v_cvt_u32_f32_e32 v2, v2
	v_mul_lo_u32 v9, s0, v6
	v_mul_hi_u32 v10, s0, v2
	v_mul_lo_u32 v12, s1, v2
	v_mul_lo_u32 v11, s0, v2
	v_add_u32_e32 v9, v10, v9
	v_add_u32_e32 v9, v9, v12
	v_mul_hi_u32 v10, v2, v11
	v_mul_lo_u32 v12, v2, v9
	v_mul_hi_u32 v14, v2, v9
	v_mul_hi_u32 v13, v6, v11
	v_mul_lo_u32 v11, v6, v11
	v_mul_hi_u32 v15, v6, v9
	v_add_co_u32_e32 v10, vcc, v10, v12
	v_addc_co_u32_e32 v12, vcc, 0, v14, vcc
	v_mul_lo_u32 v9, v6, v9
	v_add_co_u32_e32 v10, vcc, v10, v11
	v_addc_co_u32_e32 v10, vcc, v12, v13, vcc
	v_addc_co_u32_e32 v11, vcc, 0, v15, vcc
	v_add_co_u32_e32 v9, vcc, v10, v9
	v_addc_co_u32_e32 v10, vcc, 0, v11, vcc
	v_add_co_u32_e32 v2, vcc, v2, v9
	v_addc_co_u32_e32 v6, vcc, v6, v10, vcc
	v_mul_lo_u32 v9, s0, v6
	v_mul_hi_u32 v10, s0, v2
	v_mul_lo_u32 v11, s1, v2
	v_mul_lo_u32 v12, s0, v2
	v_add_u32_e32 v9, v10, v9
	v_add_u32_e32 v9, v9, v11
	v_mul_lo_u32 v13, v2, v9
	v_mul_hi_u32 v14, v2, v12
	v_mul_hi_u32 v15, v2, v9
	;; [unrolled: 1-line block ×3, first 2 shown]
	v_mul_lo_u32 v12, v6, v12
	v_mul_hi_u32 v10, v6, v9
	v_add_co_u32_e32 v13, vcc, v14, v13
	v_addc_co_u32_e32 v14, vcc, 0, v15, vcc
	v_mul_lo_u32 v9, v6, v9
	v_add_co_u32_e32 v12, vcc, v13, v12
	v_addc_co_u32_e32 v11, vcc, v14, v11, vcc
	v_addc_co_u32_e32 v10, vcc, 0, v10, vcc
	v_add_co_u32_e32 v9, vcc, v11, v9
	v_addc_co_u32_e32 v10, vcc, 0, v10, vcc
	v_add_co_u32_e32 v2, vcc, v2, v9
	v_addc_co_u32_e32 v6, vcc, v6, v10, vcc
	v_mad_u64_u32 v[9:10], s[0:1], v7, v6, 0
	v_mul_hi_u32 v11, v7, v2
	v_add_co_u32_e32 v13, vcc, v11, v9
	v_addc_co_u32_e32 v14, vcc, 0, v10, vcc
	v_mad_u64_u32 v[9:10], s[0:1], v8, v2, 0
	v_mad_u64_u32 v[11:12], s[0:1], v8, v6, 0
	v_add_co_u32_e32 v2, vcc, v13, v9
	v_addc_co_u32_e32 v2, vcc, v14, v10, vcc
	v_addc_co_u32_e32 v6, vcc, 0, v12, vcc
	v_add_co_u32_e32 v2, vcc, v2, v11
	v_addc_co_u32_e32 v6, vcc, 0, v6, vcc
	v_mul_lo_u32 v11, s19, v2
	v_mul_lo_u32 v12, s18, v6
	v_mad_u64_u32 v[9:10], s[0:1], s18, v2, 0
	v_add3_u32 v10, v10, v12, v11
	v_sub_u32_e32 v11, v8, v10
	v_mov_b32_e32 v12, s19
	v_sub_co_u32_e32 v9, vcc, v7, v9
	v_subb_co_u32_e64 v11, s[0:1], v11, v12, vcc
	v_subrev_co_u32_e64 v12, s[0:1], s18, v9
	v_subbrev_co_u32_e64 v11, s[0:1], 0, v11, s[0:1]
	v_cmp_le_u32_e64 s[0:1], s19, v11
	v_cndmask_b32_e64 v13, 0, -1, s[0:1]
	v_cmp_le_u32_e64 s[0:1], s18, v12
	v_cndmask_b32_e64 v12, 0, -1, s[0:1]
	v_cmp_eq_u32_e64 s[0:1], s19, v11
	v_cndmask_b32_e64 v11, v13, v12, s[0:1]
	v_add_co_u32_e64 v12, s[0:1], 2, v2
	v_addc_co_u32_e64 v13, s[0:1], 0, v6, s[0:1]
	v_add_co_u32_e64 v14, s[0:1], 1, v2
	v_addc_co_u32_e64 v15, s[0:1], 0, v6, s[0:1]
	v_subb_co_u32_e32 v10, vcc, v8, v10, vcc
	v_cmp_ne_u32_e64 s[0:1], 0, v11
	v_cmp_le_u32_e32 vcc, s19, v10
	v_cndmask_b32_e64 v11, v15, v13, s[0:1]
	v_cndmask_b32_e64 v13, 0, -1, vcc
	v_cmp_le_u32_e32 vcc, s18, v9
	v_cndmask_b32_e64 v9, 0, -1, vcc
	v_cmp_eq_u32_e32 vcc, s19, v10
	v_cndmask_b32_e32 v9, v13, v9, vcc
	v_cmp_ne_u32_e32 vcc, 0, v9
	v_cndmask_b32_e32 v10, v6, v11, vcc
	v_cndmask_b32_e64 v6, v14, v12, s[0:1]
	v_cndmask_b32_e32 v9, v2, v6, vcc
.LBB0_4:                                ;   in Loop: Header=BB0_2 Depth=1
	s_andn2_saveexec_b64 s[0:1], s[20:21]
	s_cbranch_execz .LBB0_6
; %bb.5:                                ;   in Loop: Header=BB0_2 Depth=1
	v_cvt_f32_u32_e32 v2, s18
	s_sub_i32 s20, 0, s18
	v_rcp_iflag_f32_e32 v2, v2
	v_mul_f32_e32 v2, 0x4f7ffffe, v2
	v_cvt_u32_f32_e32 v2, v2
	v_mul_lo_u32 v6, s20, v2
	v_mul_hi_u32 v6, v2, v6
	v_add_u32_e32 v2, v2, v6
	v_mul_hi_u32 v2, v7, v2
	v_mul_lo_u32 v6, v2, s18
	v_add_u32_e32 v9, 1, v2
	v_sub_u32_e32 v6, v7, v6
	v_subrev_u32_e32 v10, s18, v6
	v_cmp_le_u32_e32 vcc, s18, v6
	v_cndmask_b32_e32 v6, v6, v10, vcc
	v_cndmask_b32_e32 v2, v2, v9, vcc
	v_add_u32_e32 v9, 1, v2
	v_cmp_le_u32_e32 vcc, s18, v6
	v_cndmask_b32_e32 v9, v2, v9, vcc
	v_mov_b32_e32 v10, v5
.LBB0_6:                                ;   in Loop: Header=BB0_2 Depth=1
	s_or_b64 exec, exec, s[0:1]
	v_mul_lo_u32 v2, v10, s18
	v_mul_lo_u32 v6, v9, s19
	v_mad_u64_u32 v[11:12], s[0:1], v9, s18, 0
	s_load_dwordx2 s[0:1], s[6:7], 0x0
	s_add_u32 s14, s14, 1
	v_add3_u32 v2, v12, v6, v2
	v_sub_co_u32_e32 v6, vcc, v7, v11
	v_subb_co_u32_e32 v2, vcc, v8, v2, vcc
	s_waitcnt lgkmcnt(0)
	v_mul_lo_u32 v2, s0, v2
	v_mul_lo_u32 v7, s1, v6
	v_mad_u64_u32 v[3:4], s[0:1], s0, v6, v[3:4]
	s_addc_u32 s15, s15, 0
	s_add_u32 s6, s6, 8
	v_add3_u32 v4, v7, v4, v2
	v_mov_b32_e32 v6, s10
	v_mov_b32_e32 v7, s11
	s_addc_u32 s7, s7, 0
	v_cmp_ge_u64_e32 vcc, s[14:15], v[6:7]
	s_add_u32 s16, s16, 8
	s_addc_u32 s17, s17, 0
	s_cbranch_vccnz .LBB0_8
; %bb.7:                                ;   in Loop: Header=BB0_2 Depth=1
	v_mov_b32_e32 v7, v9
	v_mov_b32_e32 v8, v10
	s_branch .LBB0_2
.LBB0_8:
	s_lshl_b64 s[0:1], s[10:11], 3
	s_add_u32 s0, s2, s0
	s_addc_u32 s1, s3, s1
	s_load_dwordx2 s[0:1], s[0:1], 0x0
	s_mov_b32 s2, 0xaaaaaaab
	v_mul_hi_u32 v5, v1, s2
	s_mov_b32 s2, 0x369d037
	s_waitcnt lgkmcnt(0)
	v_mul_lo_u32 v6, s0, v10
	v_mul_lo_u32 v7, s1, v9
	v_mad_u64_u32 v[2:3], s[0:1], s0, v9, v[3:4]
	s_load_dwordx2 s[0:1], s[4:5], 0x20
	v_lshrrev_b32_e32 v4, 1, v5
	v_mul_hi_u32 v5, v0, s2
	v_lshl_add_u32 v4, v4, 1, v4
	v_add3_u32 v3, v7, v3, v6
	v_sub_u32_e32 v1, v1, v4
	v_mul_u32_u24_e32 v85, 0x4b1, v1
	s_waitcnt lgkmcnt(0)
	v_cmp_gt_u64_e64 s[0:1], s[0:1], v[9:10]
	v_mul_u32_u24_e32 v1, 0x4b, v5
	v_lshlrev_b64 v[82:83], 4, v[2:3]
	v_sub_u32_e32 v80, v0, v1
	v_lshlrev_b32_e32 v86, 4, v85
	s_and_saveexec_b64 s[2:3], s[0:1]
	s_cbranch_execz .LBB0_12
; %bb.9:
	v_mov_b32_e32 v81, 0
	v_mov_b32_e32 v0, s13
	v_add_co_u32_e32 v1, vcc, s12, v82
	v_lshlrev_b64 v[2:3], 4, v[80:81]
	v_addc_co_u32_e32 v0, vcc, v0, v83, vcc
	v_add_co_u32_e32 v58, vcc, v1, v2
	v_addc_co_u32_e32 v59, vcc, v0, v3, vcc
	s_movk_i32 s4, 0x1000
	v_add_co_u32_e32 v43, vcc, s4, v58
	v_addc_co_u32_e32 v44, vcc, 0, v59, vcc
	s_movk_i32 s4, 0x2000
	;; [unrolled: 3-line block ×3, first 2 shown]
	v_add_co_u32_e32 v60, vcc, s4, v58
	v_addc_co_u32_e32 v61, vcc, 0, v59, vcc
	v_add_co_u32_e32 v67, vcc, 0x4000, v58
	v_addc_co_u32_e32 v68, vcc, 0, v59, vcc
	global_load_dwordx4 v[3:6], v[58:59], off
	global_load_dwordx4 v[7:10], v[58:59], off offset:1200
	global_load_dwordx4 v[11:14], v[58:59], off offset:2400
	;; [unrolled: 1-line block ×9, first 2 shown]
	s_nop 0
	global_load_dwordx4 v[43:46], v[51:52], off offset:3808
	global_load_dwordx4 v[47:50], v[60:61], off offset:912
	s_nop 0
	global_load_dwordx4 v[51:54], v[60:61], off offset:2112
	global_load_dwordx4 v[55:58], v[60:61], off offset:3312
	;; [unrolled: 3-line block ×3, first 2 shown]
	v_lshlrev_b32_e32 v2, 4, v80
	s_movk_i32 s4, 0x4a
	v_add3_u32 v2, 0, v86, v2
	v_cmp_eq_u32_e32 vcc, s4, v80
	s_waitcnt vmcnt(15)
	ds_write_b128 v2, v[3:6]
	s_waitcnt vmcnt(14)
	ds_write_b128 v2, v[7:10] offset:1200
	s_waitcnt vmcnt(13)
	ds_write_b128 v2, v[11:14] offset:2400
	s_waitcnt vmcnt(12)
	ds_write_b128 v2, v[15:18] offset:3600
	s_waitcnt vmcnt(11)
	ds_write_b128 v2, v[19:22] offset:4800
	s_waitcnt vmcnt(10)
	ds_write_b128 v2, v[23:26] offset:6000
	s_waitcnt vmcnt(9)
	ds_write_b128 v2, v[27:30] offset:7200
	s_waitcnt vmcnt(8)
	ds_write_b128 v2, v[31:34] offset:8400
	s_waitcnt vmcnt(7)
	ds_write_b128 v2, v[35:38] offset:9600
	s_waitcnt vmcnt(6)
	ds_write_b128 v2, v[39:42] offset:10800
	s_waitcnt vmcnt(5)
	ds_write_b128 v2, v[43:46] offset:12000
	s_waitcnt vmcnt(4)
	ds_write_b128 v2, v[47:50] offset:13200
	s_waitcnt vmcnt(3)
	ds_write_b128 v2, v[51:54] offset:14400
	s_waitcnt vmcnt(2)
	ds_write_b128 v2, v[55:58] offset:15600
	s_waitcnt vmcnt(1)
	ds_write_b128 v2, v[59:62] offset:16800
	s_waitcnt vmcnt(0)
	ds_write_b128 v2, v[63:66] offset:18000
	s_and_saveexec_b64 s[4:5], vcc
	s_cbranch_execz .LBB0_11
; %bb.10:
	v_add_co_u32_e32 v3, vcc, 0x4000, v1
	v_addc_co_u32_e32 v4, vcc, 0, v0, vcc
	global_load_dwordx4 v[3:6], v[3:4], off offset:2816
	v_mov_b32_e32 v80, 0x4a
	s_waitcnt vmcnt(0)
	ds_write_b128 v2, v[3:6] offset:18016
.LBB0_11:
	s_or_b64 exec, exec, s[4:5]
.LBB0_12:
	s_or_b64 exec, exec, s[2:3]
	v_lshl_add_u32 v84, v85, 4, 0
	v_lshlrev_b32_e32 v0, 4, v80
	v_add_u32_e32 v87, v84, v0
	s_waitcnt lgkmcnt(0)
	s_barrier
	v_sub_u32_e32 v10, v84, v0
	ds_read_b64 v[6:7], v87
	ds_read_b64 v[8:9], v10 offset:19200
	s_add_u32 s4, s8, 0x4ab0
	s_addc_u32 s5, s9, 0
	v_cmp_ne_u32_e32 vcc, 0, v80
                                        ; implicit-def: $vgpr4_vgpr5
	s_waitcnt lgkmcnt(0)
	v_add_f64 v[0:1], v[6:7], v[8:9]
	v_add_f64 v[2:3], v[6:7], -v[8:9]
	s_and_saveexec_b64 s[2:3], vcc
	s_xor_b64 s[2:3], exec, s[2:3]
	s_cbranch_execz .LBB0_14
; %bb.13:
	v_mov_b32_e32 v81, 0
	v_lshlrev_b64 v[0:1], 4, v[80:81]
	v_mov_b32_e32 v2, s5
	v_add_co_u32_e32 v0, vcc, s4, v0
	v_addc_co_u32_e32 v1, vcc, v2, v1, vcc
	global_load_dwordx4 v[2:5], v[0:1], off
	ds_read_b64 v[0:1], v10 offset:19208
	ds_read_b64 v[11:12], v87 offset:8
	v_add_f64 v[13:14], v[6:7], v[8:9]
	v_add_f64 v[8:9], v[6:7], -v[8:9]
	s_waitcnt lgkmcnt(0)
	v_add_f64 v[15:16], v[0:1], v[11:12]
	v_add_f64 v[0:1], v[11:12], -v[0:1]
	s_waitcnt vmcnt(0)
	v_fma_f64 v[6:7], -v[8:9], v[4:5], v[13:14]
	v_fma_f64 v[11:12], v[15:16], v[4:5], -v[0:1]
	v_fma_f64 v[13:14], v[8:9], v[4:5], v[13:14]
	v_fma_f64 v[17:18], v[15:16], v[4:5], v[0:1]
	;; [unrolled: 1-line block ×4, first 2 shown]
	v_fma_f64 v[0:1], -v[15:16], v[2:3], v[13:14]
	v_fma_f64 v[2:3], v[8:9], v[2:3], v[17:18]
	ds_write_b128 v10, v[4:7] offset:19200
	v_mov_b32_e32 v4, v80
	v_mov_b32_e32 v5, v81
.LBB0_14:
	s_andn2_saveexec_b64 s[2:3], s[2:3]
	s_cbranch_execz .LBB0_16
; %bb.15:
	ds_read_b128 v[4:7], v84 offset:9600
	s_waitcnt lgkmcnt(0)
	v_add_f64 v[11:12], v[4:5], v[4:5]
	v_mul_f64 v[13:14], v[6:7], -2.0
	v_mov_b32_e32 v4, 0
	v_mov_b32_e32 v5, 0
	ds_write_b128 v84, v[11:14] offset:9600
.LBB0_16:
	s_or_b64 exec, exec, s[2:3]
	v_lshlrev_b64 v[4:5], 4, v[4:5]
	v_mov_b32_e32 v6, s5
	v_add_co_u32_e32 v4, vcc, s4, v4
	v_addc_co_u32_e32 v5, vcc, v6, v5, vcc
	global_load_dwordx4 v[6:9], v[4:5], off offset:1200
	global_load_dwordx4 v[11:14], v[4:5], off offset:2400
	ds_write_b128 v87, v[0:3]
	ds_read_b128 v[0:3], v87 offset:1200
	ds_read_b128 v[15:18], v10 offset:18000
	global_load_dwordx4 v[19:22], v[4:5], off offset:3600
	s_movk_i32 s2, 0x1000
	v_lshl_add_u32 v88, v80, 4, 0
	v_add_u32_e32 v81, v88, v86
	s_waitcnt lgkmcnt(0)
	v_add_f64 v[23:24], v[0:1], v[15:16]
	v_add_f64 v[25:26], v[17:18], v[2:3]
	v_add_f64 v[27:28], v[0:1], -v[15:16]
	v_add_f64 v[0:1], v[2:3], -v[17:18]
	s_mov_b32 s14, 0x134454ff
	s_mov_b32 s15, 0xbfee6f0e
	;; [unrolled: 1-line block ×7, first 2 shown]
	s_waitcnt vmcnt(2)
	v_fma_f64 v[2:3], v[27:28], v[8:9], v[23:24]
	v_fma_f64 v[15:16], v[25:26], v[8:9], v[0:1]
	v_fma_f64 v[17:18], -v[27:28], v[8:9], v[23:24]
	v_fma_f64 v[8:9], v[25:26], v[8:9], -v[0:1]
	v_add_co_u32_e32 v23, vcc, s2, v4
	v_addc_co_u32_e32 v24, vcc, 0, v5, vcc
	v_fma_f64 v[0:1], -v[25:26], v[6:7], v[2:3]
	v_fma_f64 v[2:3], v[27:28], v[6:7], v[15:16]
	v_fma_f64 v[15:16], v[25:26], v[6:7], v[17:18]
	;; [unrolled: 1-line block ×3, first 2 shown]
	s_movk_i32 s2, 0x2000
	v_add_co_u32_e32 v4, vcc, s2, v4
	ds_write_b128 v87, v[0:3] offset:1200
	ds_write_b128 v10, v[15:18] offset:18000
	ds_read_b128 v[0:3], v87 offset:2400
	ds_read_b128 v[6:9], v10 offset:16800
	global_load_dwordx4 v[15:18], v[23:24], off offset:704
	v_addc_co_u32_e32 v5, vcc, 0, v5, vcc
	s_mov_b32 s2, 0x4755a5e
	s_waitcnt lgkmcnt(0)
	v_add_f64 v[25:26], v[0:1], v[6:7]
	v_add_f64 v[27:28], v[8:9], v[2:3]
	v_add_f64 v[29:30], v[0:1], -v[6:7]
	v_add_f64 v[0:1], v[2:3], -v[8:9]
	s_mov_b32 s3, 0xbfe2cf23
	s_mov_b32 s6, s2
	v_cmp_gt_u32_e32 vcc, 15, v80
	s_waitcnt vmcnt(2)
	v_fma_f64 v[2:3], v[29:30], v[13:14], v[25:26]
	v_fma_f64 v[6:7], v[27:28], v[13:14], v[0:1]
	v_fma_f64 v[8:9], -v[29:30], v[13:14], v[25:26]
	v_fma_f64 v[13:14], v[27:28], v[13:14], -v[0:1]
	v_fma_f64 v[0:1], -v[27:28], v[11:12], v[2:3]
	v_fma_f64 v[2:3], v[29:30], v[11:12], v[6:7]
	v_fma_f64 v[6:7], v[27:28], v[11:12], v[8:9]
	v_fma_f64 v[8:9], v[29:30], v[11:12], v[13:14]
	ds_write_b128 v87, v[0:3] offset:2400
	ds_write_b128 v10, v[6:9] offset:16800
	ds_read_b128 v[0:3], v87 offset:3600
	ds_read_b128 v[6:9], v10 offset:15600
	global_load_dwordx4 v[11:14], v[23:24], off offset:1904
	s_waitcnt lgkmcnt(0)
	v_add_f64 v[25:26], v[0:1], v[6:7]
	v_add_f64 v[27:28], v[8:9], v[2:3]
	v_add_f64 v[29:30], v[0:1], -v[6:7]
	v_add_f64 v[0:1], v[2:3], -v[8:9]
	s_waitcnt vmcnt(2)
	v_fma_f64 v[2:3], v[29:30], v[21:22], v[25:26]
	v_fma_f64 v[6:7], v[27:28], v[21:22], v[0:1]
	v_fma_f64 v[8:9], -v[29:30], v[21:22], v[25:26]
	v_fma_f64 v[21:22], v[27:28], v[21:22], -v[0:1]
	v_fma_f64 v[0:1], -v[27:28], v[19:20], v[2:3]
	v_fma_f64 v[2:3], v[29:30], v[19:20], v[6:7]
	v_fma_f64 v[6:7], v[27:28], v[19:20], v[8:9]
	v_fma_f64 v[8:9], v[29:30], v[19:20], v[21:22]
	ds_write_b128 v87, v[0:3] offset:3600
	ds_write_b128 v10, v[6:9] offset:15600
	ds_read_b128 v[0:3], v87 offset:4800
	ds_read_b128 v[6:9], v10 offset:14400
	global_load_dwordx4 v[19:22], v[23:24], off offset:3104
	s_waitcnt lgkmcnt(0)
	v_add_f64 v[23:24], v[0:1], v[6:7]
	v_add_f64 v[25:26], v[8:9], v[2:3]
	v_add_f64 v[27:28], v[0:1], -v[6:7]
	v_add_f64 v[0:1], v[2:3], -v[8:9]
	;; [unrolled: 19-line block ×3, first 2 shown]
	s_waitcnt vmcnt(2)
	v_fma_f64 v[2:3], v[6:7], v[13:14], v[4:5]
	v_fma_f64 v[8:9], v[23:24], v[13:14], v[0:1]
	v_fma_f64 v[4:5], -v[6:7], v[13:14], v[4:5]
	v_fma_f64 v[13:14], v[23:24], v[13:14], -v[0:1]
	v_fma_f64 v[0:1], -v[23:24], v[11:12], v[2:3]
	v_fma_f64 v[2:3], v[6:7], v[11:12], v[8:9]
	v_fma_f64 v[4:5], v[23:24], v[11:12], v[4:5]
	;; [unrolled: 1-line block ×3, first 2 shown]
	ds_write_b128 v87, v[0:3] offset:6000
	ds_write_b128 v10, v[4:7] offset:13200
	ds_read_b128 v[0:3], v87 offset:7200
	ds_read_b128 v[4:7], v10 offset:12000
	s_waitcnt lgkmcnt(0)
	v_add_f64 v[8:9], v[0:1], v[4:5]
	v_add_f64 v[11:12], v[6:7], v[2:3]
	v_add_f64 v[13:14], v[0:1], -v[4:5]
	v_add_f64 v[0:1], v[2:3], -v[6:7]
	s_waitcnt vmcnt(1)
	v_fma_f64 v[2:3], v[13:14], v[21:22], v[8:9]
	v_fma_f64 v[4:5], v[11:12], v[21:22], v[0:1]
	v_fma_f64 v[6:7], -v[13:14], v[21:22], v[8:9]
	v_fma_f64 v[8:9], v[11:12], v[21:22], -v[0:1]
	v_fma_f64 v[0:1], -v[11:12], v[19:20], v[2:3]
	v_fma_f64 v[2:3], v[13:14], v[19:20], v[4:5]
	v_fma_f64 v[4:5], v[11:12], v[19:20], v[6:7]
	;; [unrolled: 1-line block ×3, first 2 shown]
	ds_write_b128 v87, v[0:3] offset:7200
	ds_write_b128 v10, v[4:7] offset:12000
	ds_read_b128 v[0:3], v87 offset:8400
	ds_read_b128 v[4:7], v10 offset:10800
	s_waitcnt lgkmcnt(0)
	v_add_f64 v[8:9], v[0:1], v[4:5]
	v_add_f64 v[11:12], v[6:7], v[2:3]
	v_add_f64 v[13:14], v[0:1], -v[4:5]
	v_add_f64 v[0:1], v[2:3], -v[6:7]
	s_waitcnt vmcnt(0)
	v_fma_f64 v[2:3], v[13:14], v[17:18], v[8:9]
	v_fma_f64 v[4:5], v[11:12], v[17:18], v[0:1]
	v_fma_f64 v[6:7], -v[13:14], v[17:18], v[8:9]
	v_fma_f64 v[8:9], v[11:12], v[17:18], -v[0:1]
	v_fma_f64 v[0:1], -v[11:12], v[15:16], v[2:3]
	v_fma_f64 v[2:3], v[13:14], v[15:16], v[4:5]
	v_fma_f64 v[4:5], v[11:12], v[15:16], v[6:7]
	;; [unrolled: 1-line block ×3, first 2 shown]
	ds_write_b128 v87, v[0:3] offset:8400
	ds_write_b128 v10, v[4:7] offset:10800
	s_waitcnt lgkmcnt(0)
	s_barrier
	s_barrier
	ds_read_b128 v[42:45], v87
	ds_read_b128 v[46:49], v81 offset:1200
	ds_read_b128 v[50:53], v81 offset:3840
	;; [unrolled: 1-line block ×19, first 2 shown]
	s_waitcnt lgkmcnt(14)
	v_add_f64 v[8:9], v[42:43], v[50:51]
	s_waitcnt lgkmcnt(13)
	v_add_f64 v[78:79], v[58:59], v[66:67]
	s_waitcnt lgkmcnt(11)
	v_add_f64 v[93:94], v[52:53], -v[76:77]
	v_add_f64 v[97:98], v[50:51], -v[58:59]
	;; [unrolled: 1-line block ×3, first 2 shown]
	v_add_f64 v[101:102], v[50:51], v[74:75]
	v_add_f64 v[103:104], v[58:59], -v[50:51]
	v_add_f64 v[105:106], v[66:67], -v[74:75]
	v_add_f64 v[107:108], v[44:45], v[52:53]
	v_add_f64 v[109:110], v[60:61], v[68:69]
	v_add_f64 v[113:114], v[52:53], -v[60:61]
	v_add_f64 v[117:118], v[52:53], v[76:77]
	v_add_f64 v[52:53], v[60:61], -v[52:53]
	v_add_f64 v[119:120], v[68:69], -v[76:77]
	v_add_f64 v[121:122], v[46:47], v[54:55]
	v_add_f64 v[123:124], v[62:63], v[70:71]
	s_waitcnt lgkmcnt(10)
	v_add_f64 v[133:134], v[54:55], v[89:90]
	v_add_f64 v[95:96], v[60:61], -v[68:69]
	v_add_f64 v[50:51], v[50:51], -v[74:75]
	;; [unrolled: 1-line block ×8, first 2 shown]
	v_add_f64 v[139:140], v[48:49], v[56:57]
	v_add_f64 v[141:142], v[64:65], v[72:73]
	v_add_f64 v[143:144], v[62:63], -v[70:71]
	v_add_f64 v[149:150], v[56:57], v[91:92]
	v_add_f64 v[8:9], v[8:9], v[58:59]
	v_fma_f64 v[58:59], v[78:79], -0.5, v[42:43]
	v_add_f64 v[78:79], v[97:98], v[99:100]
	v_fma_f64 v[42:43], v[101:102], -0.5, v[42:43]
	v_add_f64 v[97:98], v[103:104], v[105:106]
	v_add_f64 v[60:61], v[107:108], v[60:61]
	v_fma_f64 v[99:100], v[109:110], -0.5, v[44:45]
	v_add_f64 v[103:104], v[52:53], v[119:120]
	v_add_f64 v[52:53], v[121:122], v[62:63]
	v_fma_f64 v[62:63], v[123:124], -0.5, v[46:47]
	v_fma_f64 v[46:47], v[133:134], -0.5, v[46:47]
	v_add_f64 v[115:116], v[76:77], -v[68:69]
	v_add_f64 v[137:138], v[70:71], -v[89:90]
	;; [unrolled: 1-line block ×7, first 2 shown]
	s_waitcnt lgkmcnt(7)
	v_add_f64 v[153:154], v[38:39], v[22:23]
	v_add_f64 v[171:172], v[40:41], v[24:25]
	s_waitcnt lgkmcnt(3)
	v_add_f64 v[173:174], v[28:29], v[32:33]
	v_fma_f64 v[44:45], v[117:118], -0.5, v[44:45]
	v_add_f64 v[105:106], v[129:130], v[131:132]
	v_add_f64 v[64:65], v[139:140], v[64:65]
	v_fma_f64 v[109:110], v[141:142], -0.5, v[48:49]
	v_fma_f64 v[48:49], v[149:150], -0.5, v[48:49]
	v_add_f64 v[8:9], v[8:9], v[66:67]
	v_fma_f64 v[66:67], v[93:94], s[14:15], v[58:59]
	v_fma_f64 v[58:59], v[93:94], s[10:11], v[58:59]
	;; [unrolled: 1-line block ×4, first 2 shown]
	v_add_f64 v[60:61], v[60:61], v[68:69]
	v_fma_f64 v[68:69], v[50:51], s[10:11], v[99:100]
	v_fma_f64 v[99:100], v[50:51], s[14:15], v[99:100]
	v_add_f64 v[52:53], v[52:53], v[70:71]
	v_fma_f64 v[70:71], v[125:126], s[14:15], v[62:63]
	v_fma_f64 v[62:63], v[125:126], s[10:11], v[62:63]
	;; [unrolled: 1-line block ×4, first 2 shown]
	v_add_f64 v[155:156], v[26:27], v[30:31]
	v_add_f64 v[161:162], v[22:23], -v[26:27]
	s_waitcnt lgkmcnt(1)
	v_add_f64 v[165:166], v[22:23], v[34:35]
	v_add_f64 v[167:168], v[26:27], -v[22:23]
	v_add_f64 v[22:23], v[22:23], -v[34:35]
	v_add_f64 v[101:102], v[113:114], v[115:116]
	v_add_f64 v[107:108], v[135:136], v[137:138]
	v_add_f64 v[113:114], v[145:146], v[147:148]
	v_add_f64 v[115:116], v[56:57], v[151:152]
	v_add_f64 v[56:57], v[153:154], v[26:27]
	v_add_f64 v[123:124], v[171:172], v[28:29]
	v_fma_f64 v[129:130], v[173:174], -0.5, v[40:41]
	v_fma_f64 v[135:136], v[111:112], s[14:15], v[44:45]
	v_fma_f64 v[137:138], v[111:112], s[10:11], v[44:45]
	v_add_f64 v[64:65], v[64:65], v[72:73]
	v_fma_f64 v[72:73], v[54:55], s[10:11], v[109:110]
	v_fma_f64 v[109:110], v[54:55], s[14:15], v[109:110]
	v_fma_f64 v[145:146], v[143:144], s[14:15], v[48:49]
	v_fma_f64 v[147:148], v[143:144], s[10:11], v[48:49]
	v_add_f64 v[42:43], v[8:9], v[74:75]
	v_fma_f64 v[8:9], v[95:96], s[2:3], v[66:67]
	v_fma_f64 v[58:59], v[95:96], s[6:7], v[58:59]
	;; [unrolled: 5-line block ×3, first 2 shown]
	v_add_f64 v[46:47], v[52:53], v[89:90]
	v_fma_f64 v[70:71], v[127:128], s[2:3], v[70:71]
	v_fma_f64 v[89:90], v[127:128], s[6:7], v[62:63]
	;; [unrolled: 1-line block ×4, first 2 shown]
	v_add_f64 v[159:160], v[28:29], -v[32:33]
	v_fma_f64 v[117:118], v[155:156], -0.5, v[38:39]
	v_fma_f64 v[38:39], v[165:166], -0.5, v[38:39]
	v_add_f64 v[56:57], v[56:57], v[30:31]
	v_fma_f64 v[76:77], v[50:51], s[6:7], v[135:136]
	v_fma_f64 v[93:94], v[50:51], s[2:3], v[137:138]
	v_add_f64 v[48:49], v[64:65], v[91:92]
	v_fma_f64 v[91:92], v[143:144], s[2:3], v[109:110]
	v_fma_f64 v[109:110], v[54:55], s[6:7], v[145:146]
	;; [unrolled: 1-line block ×11, first 2 shown]
	v_add_f64 v[8:9], v[123:124], v[32:33]
	v_add_f64 v[78:79], v[24:25], v[36:37]
	v_fma_f64 v[95:96], v[22:23], s[10:11], v[129:130]
	v_add_f64 v[26:27], v[26:27], -v[30:31]
	v_add_f64 v[99:100], v[18:19], v[10:11]
	v_fma_f64 v[151:152], v[159:160], s[10:11], v[38:39]
	v_fma_f64 v[153:154], v[159:160], s[14:15], v[38:39]
	;; [unrolled: 1-line block ×3, first 2 shown]
	v_add_f64 v[38:39], v[56:57], v[34:35]
	v_fma_f64 v[52:53], v[101:102], s[4:5], v[60:61]
	v_fma_f64 v[56:57], v[101:102], s[4:5], v[68:69]
	v_fma_f64 v[60:61], v[103:104], s[4:5], v[76:77]
	v_fma_f64 v[64:65], v[103:104], s[4:5], v[93:94]
	v_add_f64 v[101:102], v[24:25], -v[28:29]
	v_add_f64 v[103:104], v[36:37], -v[32:33]
	v_fma_f64 v[78:79], v[78:79], -0.5, v[40:41]
	v_add_f64 v[40:41], v[8:9], v[36:37]
	v_fma_f64 v[8:9], v[26:27], s[6:7], v[95:96]
	v_add_f64 v[95:96], v[4:5], v[14:15]
	v_fma_f64 v[105:106], v[99:100], -0.5, v[4:5]
	s_waitcnt lgkmcnt(0)
	v_add_f64 v[107:108], v[16:17], -v[2:3]
	v_add_f64 v[157:158], v[24:25], -v[36:37]
	v_fma_f64 v[68:69], v[113:114], s[4:5], v[72:73]
	v_fma_f64 v[72:73], v[113:114], s[4:5], v[91:92]
	;; [unrolled: 1-line block ×4, first 2 shown]
	v_add_f64 v[99:100], v[101:102], v[103:104]
	v_fma_f64 v[101:102], v[22:23], s[14:15], v[129:130]
	v_fma_f64 v[103:104], v[26:27], s[14:15], v[78:79]
	v_add_f64 v[24:25], v[28:29], -v[24:25]
	v_add_f64 v[28:29], v[32:33], -v[36:37]
	v_fma_f64 v[32:33], v[26:27], s[10:11], v[78:79]
	v_add_f64 v[36:37], v[95:96], v[18:19]
	v_fma_f64 v[78:79], v[107:108], s[14:15], v[105:106]
	v_add_f64 v[109:110], v[20:21], -v[12:13]
	v_add_f64 v[95:96], v[14:15], -v[18:19]
	;; [unrolled: 1-line block ×3, first 2 shown]
	v_fma_f64 v[26:27], v[26:27], s[2:3], v[101:102]
	v_add_f64 v[101:102], v[14:15], v[0:1]
	v_fma_f64 v[103:104], v[22:23], s[6:7], v[103:104]
	v_add_f64 v[24:25], v[24:25], v[28:29]
	v_fma_f64 v[22:23], v[22:23], s[2:3], v[32:33]
	v_fma_f64 v[78:79], v[109:110], s[2:3], v[78:79]
	v_add_f64 v[28:29], v[36:37], v[10:11]
	v_add_f64 v[111:112], v[95:96], v[111:112]
	v_fma_f64 v[36:37], v[99:100], s[4:5], v[8:9]
	v_fma_f64 v[101:102], v[101:102], -0.5, v[4:5]
	v_fma_f64 v[95:96], v[99:100], s[4:5], v[26:27]
	v_fma_f64 v[32:33], v[24:25], s[4:5], v[103:104]
	;; [unrolled: 1-line block ×3, first 2 shown]
	v_add_f64 v[22:23], v[20:21], v[12:13]
	v_add_f64 v[8:9], v[28:29], v[0:1]
	v_fma_f64 v[4:5], v[111:112], s[4:5], v[78:79]
	v_add_f64 v[78:79], v[16:17], v[2:3]
	v_fma_f64 v[24:25], v[107:108], s[10:11], v[105:106]
	v_add_f64 v[28:29], v[18:19], -v[14:15]
	v_add_f64 v[103:104], v[10:11], -v[0:1]
	v_add_f64 v[105:106], v[6:7], v[16:17]
	v_fma_f64 v[22:23], v[22:23], -0.5, v[6:7]
	v_add_f64 v[0:1], v[14:15], -v[0:1]
	v_add_f64 v[10:11], v[18:19], -v[10:11]
	v_fma_f64 v[6:7], v[78:79], -0.5, v[6:7]
	v_fma_f64 v[26:27], v[109:110], s[10:11], v[101:102]
	v_fma_f64 v[14:15], v[109:110], s[6:7], v[24:25]
	v_add_f64 v[18:19], v[28:29], v[103:104]
	v_fma_f64 v[24:25], v[109:110], s[14:15], v[101:102]
	v_add_f64 v[28:29], v[105:106], v[20:21]
	v_fma_f64 v[78:79], v[0:1], s[10:11], v[22:23]
	v_add_f64 v[101:102], v[16:17], -v[20:21]
	v_add_f64 v[103:104], v[2:3], -v[12:13]
	v_fma_f64 v[22:23], v[0:1], s[14:15], v[22:23]
	v_fma_f64 v[105:106], v[10:11], s[14:15], v[6:7]
	v_add_f64 v[16:17], v[20:21], -v[16:17]
	v_add_f64 v[20:21], v[12:13], -v[2:3]
	v_fma_f64 v[6:7], v[10:11], s[10:11], v[6:7]
	v_add_f64 v[163:164], v[34:35], -v[30:31]
	v_fma_f64 v[149:150], v[157:158], s[14:15], v[117:118]
	;; [unrolled: 2-line block ×3, first 2 shown]
	v_fma_f64 v[26:27], v[107:108], s[2:3], v[26:27]
	v_fma_f64 v[107:108], v[107:108], s[6:7], v[24:25]
	v_add_f64 v[28:29], v[28:29], v[12:13]
	v_fma_f64 v[78:79], v[10:11], s[6:7], v[78:79]
	v_add_f64 v[101:102], v[101:102], v[103:104]
	v_fma_f64 v[22:23], v[10:11], s[2:3], v[22:23]
	v_fma_f64 v[103:104], v[0:1], s[6:7], v[105:106]
	v_add_f64 v[16:17], v[16:17], v[20:21]
	v_fma_f64 v[0:1], v[0:1], s[2:3], v[6:7]
	v_add_f64 v[119:120], v[161:162], v[163:164]
	;; [unrolled: 2-line block ×3, first 2 shown]
	v_fma_f64 v[125:126], v[157:158], s[2:3], v[151:152]
	v_fma_f64 v[127:128], v[157:158], s[6:7], v[153:154]
	;; [unrolled: 1-line block ×6, first 2 shown]
	v_add_f64 v[10:11], v[28:29], v[2:3]
	v_fma_f64 v[6:7], v[101:102], s[4:5], v[78:79]
	v_fma_f64 v[26:27], v[101:102], s[4:5], v[22:23]
	;; [unrolled: 1-line block ×8, first 2 shown]
	s_movk_i32 s2, 0x50
	v_mad_u32_u24 v0, v80, s2, 0
	v_add_u32_e32 v1, v0, v86
	v_add_u32_e32 v0, 0x2ee0, v0
	s_barrier
	ds_write_b128 v1, v[42:45]
	ds_write_b128 v1, v[50:53] offset:16
	ds_write_b128 v1, v[58:61] offset:32
	;; [unrolled: 1-line block ×9, first 2 shown]
	v_add_u32_e32 v1, v0, v86
	ds_write_b128 v1, v[38:41]
	ds_write_b128 v1, v[34:37] offset:16
	ds_write_b128 v1, v[30:33] offset:32
	;; [unrolled: 1-line block ×4, first 2 shown]
	s_and_saveexec_b64 s[2:3], vcc
	s_cbranch_execz .LBB0_18
; %bb.17:
	v_lshl_add_u32 v0, v85, 4, v0
	ds_write_b128 v0, v[8:11] offset:6000
	v_add_u32_e32 v0, 0x1000, v0
	ds_write2_b64 v0, v[4:5], v[6:7] offset0:240 offset1:241
	ds_write2_b64 v0, v[12:13], v[14:15] offset0:242 offset1:243
	;; [unrolled: 1-line block ×4, first 2 shown]
.LBB0_18:
	s_or_b64 exec, exec, s[2:3]
	s_waitcnt lgkmcnt(0)
	s_barrier
	ds_read_b128 v[28:31], v87
	ds_read_b128 v[16:19], v81 offset:1200
	ds_read_b128 v[60:63], v81 offset:7680
	;; [unrolled: 1-line block ×14, first 2 shown]
	s_and_saveexec_b64 s[2:3], vcc
	s_cbranch_execz .LBB0_20
; %bb.19:
	ds_read_b128 v[8:11], v81 offset:3600
	ds_read_b128 v[4:7], v81 offset:7440
	;; [unrolled: 1-line block ×5, first 2 shown]
.LBB0_20:
	s_or_b64 exec, exec, s[2:3]
	s_movk_i32 s16, 0xcd
	v_mul_lo_u16_sdwa v89, v80, s16 dst_sel:DWORD dst_unused:UNUSED_PAD src0_sel:BYTE_0 src1_sel:DWORD
	v_lshrrev_b16_e32 v94, 10, v89
	v_mul_lo_u16_e32 v89, 5, v94
	v_sub_u16_e32 v95, v80, v89
	v_mov_b32_e32 v91, 6
	v_lshlrev_b32_sdwa v89, v91, v95 dst_sel:DWORD dst_unused:UNUSED_PAD src0_sel:DWORD src1_sel:BYTE_0
	global_load_dwordx4 v[99:102], v89, s[8:9]
	global_load_dwordx4 v[103:106], v89, s[8:9] offset:16
	global_load_dwordx4 v[107:110], v89, s[8:9] offset:32
	;; [unrolled: 1-line block ×3, first 2 shown]
	v_add_u32_e32 v89, 0x4b, v80
	v_mul_lo_u16_sdwa v90, v89, s16 dst_sel:DWORD dst_unused:UNUSED_PAD src0_sel:BYTE_0 src1_sel:DWORD
	v_lshrrev_b16_e32 v92, 10, v90
	v_mul_lo_u16_e32 v90, 5, v92
	v_sub_u16_e32 v93, v89, v90
	v_lshlrev_b32_sdwa v96, v91, v93 dst_sel:DWORD dst_unused:UNUSED_PAD src0_sel:DWORD src1_sel:BYTE_0
	global_load_dwordx4 v[115:118], v96, s[8:9]
	global_load_dwordx4 v[119:122], v96, s[8:9] offset:16
	global_load_dwordx4 v[123:126], v96, s[8:9] offset:32
	;; [unrolled: 1-line block ×3, first 2 shown]
	v_add_u32_e32 v90, 0x96, v80
	v_mul_lo_u16_sdwa v97, v90, s16 dst_sel:DWORD dst_unused:UNUSED_PAD src0_sel:BYTE_0 src1_sel:DWORD
	v_lshrrev_b16_e32 v97, 10, v97
	v_mul_lo_u16_e32 v96, 5, v97
	v_sub_u16_e32 v98, v90, v96
	v_lshlrev_b32_sdwa v96, v91, v98 dst_sel:DWORD dst_unused:UNUSED_PAD src0_sel:DWORD src1_sel:BYTE_0
	global_load_dwordx4 v[131:134], v96, s[8:9]
	global_load_dwordx4 v[135:138], v96, s[8:9] offset:16
	v_add_u32_e32 v91, 0xe1, v80
	s_mov_b32 s2, 0xcccd
	v_mul_u32_u24_sdwa v139, v91, s2 dst_sel:DWORD dst_unused:UNUSED_PAD src0_sel:WORD_0 src1_sel:DWORD
	v_lshrrev_b32_e32 v147, 18, v139
	global_load_dwordx4 v[139:142], v96, s[8:9] offset:32
	global_load_dwordx4 v[143:146], v96, s[8:9] offset:48
	v_mul_lo_u16_e32 v96, 5, v147
	v_sub_u16_e32 v96, v91, v96
	v_lshlrev_b32_e32 v159, 6, v96
	global_load_dwordx4 v[147:150], v159, s[8:9]
	global_load_dwordx4 v[151:154], v159, s[8:9] offset:16
	global_load_dwordx4 v[155:158], v159, s[8:9] offset:32
	s_nop 0
	global_load_dwordx4 v[159:162], v159, s[8:9] offset:48
	s_mov_b32 s10, 0x134454ff
	s_mov_b32 s11, 0xbfee6f0e
	;; [unrolled: 1-line block ×9, first 2 shown]
	s_movk_i32 s17, 0x190
	s_waitcnt vmcnt(0) lgkmcnt(0)
	s_barrier
	v_mul_f64 v[163:164], v[74:75], v[101:102]
	v_mul_f64 v[101:102], v[72:73], v[101:102]
	v_mul_f64 v[165:166], v[62:63], v[105:106]
	v_mul_f64 v[105:106], v[60:61], v[105:106]
	v_mul_f64 v[167:168], v[78:79], v[109:110]
	v_mul_f64 v[109:110], v[76:77], v[109:110]
	v_mul_f64 v[169:170], v[58:59], v[113:114]
	v_mul_f64 v[113:114], v[56:57], v[113:114]
	v_fma_f64 v[72:73], v[72:73], v[99:100], v[163:164]
	v_fma_f64 v[74:75], v[74:75], v[99:100], -v[101:102]
	v_mul_f64 v[175:176], v[70:71], v[125:126]
	v_mul_f64 v[125:126], v[68:69], v[125:126]
	;; [unrolled: 1-line block ×3, first 2 shown]
	v_fma_f64 v[60:61], v[60:61], v[103:104], v[165:166]
	v_fma_f64 v[99:100], v[62:63], v[103:104], -v[105:106]
	v_fma_f64 v[62:63], v[76:77], v[107:108], v[167:168]
	v_mul_f64 v[171:172], v[66:67], v[117:118]
	v_mul_f64 v[117:118], v[64:65], v[117:118]
	v_mul_f64 v[129:130], v[32:33], v[129:130]
	v_mul_f64 v[179:180], v[54:55], v[133:134]
	v_mul_f64 v[133:134], v[52:53], v[133:134]
	v_fma_f64 v[76:77], v[78:79], v[107:108], -v[109:110]
	v_fma_f64 v[56:57], v[56:57], v[111:112], v[169:170]
	v_fma_f64 v[78:79], v[58:59], v[111:112], -v[113:114]
	v_fma_f64 v[105:106], v[68:69], v[123:124], v[175:176]
	;; [unrolled: 2-line block ×3, first 2 shown]
	v_add_f64 v[32:33], v[60:61], v[62:63]
	v_mul_f64 v[173:174], v[42:43], v[121:122]
	v_mul_f64 v[121:122], v[40:41], v[121:122]
	;; [unrolled: 1-line block ×11, first 2 shown]
	v_fma_f64 v[101:102], v[64:65], v[115:116], v[171:172]
	v_fma_f64 v[103:104], v[66:67], v[115:116], -v[117:118]
	v_fma_f64 v[109:110], v[34:35], v[127:128], -v[129:130]
	v_fma_f64 v[113:114], v[52:53], v[131:132], v[179:180]
	v_fma_f64 v[117:118], v[54:55], v[131:132], -v[133:134]
	v_add_f64 v[34:35], v[28:29], v[72:73]
	v_add_f64 v[52:53], v[74:75], -v[78:79]
	v_fma_f64 v[54:55], v[32:33], -0.5, v[28:29]
	v_add_f64 v[64:65], v[72:73], v[56:57]
	v_mul_f64 v[153:154], v[12:13], v[153:154]
	v_fma_f64 v[42:43], v[42:43], v[119:120], -v[121:122]
	v_fma_f64 v[121:122], v[38:39], v[143:144], -v[145:146]
	v_fma_f64 v[32:33], v[4:5], v[147:148], v[187:188]
	v_fma_f64 v[38:39], v[6:7], v[147:148], -v[149:150]
	v_add_f64 v[6:7], v[99:100], -v[76:77]
	v_add_f64 v[4:5], v[72:73], -v[60:61]
	;; [unrolled: 1-line block ×3, first 2 shown]
	v_add_f64 v[66:67], v[34:35], v[60:61]
	v_fma_f64 v[111:112], v[52:53], s[10:11], v[54:55]
	v_fma_f64 v[34:35], v[12:13], v[151:152], v[189:190]
	v_fma_f64 v[12:13], v[20:21], v[155:156], v[191:192]
	v_fma_f64 v[20:21], v[22:23], v[155:156], -v[157:158]
	v_fma_f64 v[28:29], v[64:65], -0.5, v[28:29]
	v_fma_f64 v[22:23], v[26:27], v[159:160], -v[161:162]
	v_add_f64 v[26:27], v[99:100], v[76:77]
	v_fma_f64 v[115:116], v[36:37], v[143:144], v[185:186]
	v_fma_f64 v[36:37], v[14:15], v[151:152], -v[153:154]
	v_add_f64 v[58:59], v[4:5], v[58:59]
	v_add_f64 v[4:5], v[66:67], v[62:63]
	v_fma_f64 v[64:65], v[6:7], s[14:15], v[111:112]
	v_fma_f64 v[14:15], v[24:25], v[159:160], v[193:194]
	v_add_f64 v[24:25], v[60:61], -v[72:73]
	v_fma_f64 v[54:55], v[52:53], s[4:5], v[54:55]
	v_fma_f64 v[66:67], v[6:7], s[4:5], v[28:29]
	v_add_f64 v[111:112], v[62:63], -v[56:57]
	v_fma_f64 v[28:29], v[6:7], s[10:11], v[28:29]
	v_add_f64 v[71:72], v[72:73], -v[56:57]
	v_fma_f64 v[26:27], v[26:27], -0.5, v[30:31]
	v_fma_f64 v[40:41], v[40:41], v[119:120], v[173:174]
	v_add_f64 v[4:5], v[4:5], v[56:57]
	v_add_f64 v[56:57], v[30:31], v[74:75]
	v_fma_f64 v[6:7], v[6:7], s[6:7], v[54:55]
	v_fma_f64 v[66:67], v[52:53], s[14:15], v[66:67]
	v_add_f64 v[54:55], v[74:75], v[78:79]
	v_add_f64 v[24:25], v[24:25], v[111:112]
	v_fma_f64 v[28:29], v[52:53], s[6:7], v[28:29]
	v_add_f64 v[119:120], v[60:61], -v[62:63]
	v_add_f64 v[123:124], v[74:75], -v[99:100]
	;; [unrolled: 1-line block ×3, first 2 shown]
	v_fma_f64 v[127:128], v[71:72], s[4:5], v[26:27]
	v_fma_f64 v[26:27], v[71:72], s[10:11], v[26:27]
	v_add_f64 v[111:112], v[56:57], v[99:100]
	v_fma_f64 v[30:31], v[54:55], -0.5, v[30:31]
	v_fma_f64 v[53:54], v[58:59], s[2:3], v[64:65]
	v_fma_f64 v[57:58], v[58:59], s[2:3], v[6:7]
	;; [unrolled: 1-line block ×4, first 2 shown]
	v_add_f64 v[24:25], v[123:124], v[125:126]
	v_add_f64 v[28:29], v[40:41], v[105:106]
	v_fma_f64 v[55:56], v[119:120], s[6:7], v[127:128]
	v_add_f64 v[59:60], v[99:100], -v[74:75]
	v_add_f64 v[67:68], v[76:77], -v[78:79]
	v_fma_f64 v[26:27], v[119:120], s[14:15], v[26:27]
	v_add_f64 v[6:7], v[111:112], v[76:77]
	v_fma_f64 v[63:64], v[119:120], s[10:11], v[30:31]
	v_add_f64 v[75:76], v[103:104], -v[109:110]
	v_fma_f64 v[28:29], v[28:29], -0.5, v[16:17]
	v_fma_f64 v[55:56], v[24:25], s[2:3], v[55:56]
	v_fma_f64 v[30:31], v[119:120], s[4:5], v[30:31]
	v_add_f64 v[67:68], v[59:60], v[67:68]
	v_fma_f64 v[59:60], v[24:25], s[2:3], v[26:27]
	v_add_f64 v[24:25], v[101:102], -v[40:41]
	v_add_f64 v[26:27], v[69:70], -v[105:106]
	v_mul_f64 v[181:182], v[46:47], v[137:138]
	v_mul_f64 v[183:184], v[50:51], v[141:142]
	v_add_f64 v[6:7], v[6:7], v[78:79]
	v_add_f64 v[73:74], v[16:17], v[101:102]
	v_fma_f64 v[63:64], v[71:72], s[6:7], v[63:64]
	v_add_f64 v[77:78], v[101:102], v[69:70]
	v_fma_f64 v[99:100], v[75:76], s[10:11], v[28:29]
	v_add_f64 v[111:112], v[42:43], -v[107:108]
	v_fma_f64 v[30:31], v[71:72], s[14:15], v[30:31]
	v_add_f64 v[71:72], v[42:43], v[107:108]
	v_add_f64 v[24:25], v[24:25], v[26:27]
	;; [unrolled: 1-line block ×3, first 2 shown]
	v_mul_f64 v[137:138], v[44:45], v[137:138]
	v_mul_f64 v[141:142], v[48:49], v[141:142]
	v_fma_f64 v[44:45], v[44:45], v[135:136], v[181:182]
	v_fma_f64 v[48:49], v[48:49], v[139:140], v[183:184]
	v_add_f64 v[73:74], v[73:74], v[40:41]
	v_fma_f64 v[16:17], v[77:78], -0.5, v[16:17]
	v_fma_f64 v[63:64], v[67:68], s[2:3], v[63:64]
	v_fma_f64 v[77:78], v[111:112], s[14:15], v[99:100]
	;; [unrolled: 1-line block ×4, first 2 shown]
	v_fma_f64 v[30:31], v[71:72], -0.5, v[18:19]
	v_add_f64 v[99:100], v[101:102], -v[69:70]
	v_add_f64 v[26:27], v[26:27], v[42:43]
	v_add_f64 v[73:74], v[73:74], v[105:106]
	v_fma_f64 v[71:72], v[111:112], s[4:5], v[16:17]
	v_add_f64 v[119:120], v[103:104], v[109:110]
	v_fma_f64 v[28:29], v[111:112], s[6:7], v[28:29]
	v_add_f64 v[101:102], v[40:41], -v[101:102]
	v_add_f64 v[123:124], v[105:106], -v[69:70]
	;; [unrolled: 1-line block ×3, first 2 shown]
	v_fma_f64 v[105:106], v[99:100], s[4:5], v[30:31]
	v_add_f64 v[125:126], v[103:104], -v[42:43]
	v_add_f64 v[127:128], v[109:110], -v[107:108]
	v_fma_f64 v[16:17], v[111:112], s[10:11], v[16:17]
	v_add_f64 v[26:27], v[26:27], v[107:108]
	v_add_f64 v[111:112], v[44:45], v[48:49]
	v_fma_f64 v[46:47], v[46:47], v[135:136], -v[137:138]
	v_fma_f64 v[50:51], v[50:51], v[139:140], -v[141:142]
	v_fma_f64 v[18:19], v[119:120], -0.5, v[18:19]
	v_add_f64 v[69:70], v[73:74], v[69:70]
	v_add_f64 v[101:102], v[101:102], v[123:124]
	v_fma_f64 v[105:106], v[40:41], s[6:7], v[105:106]
	v_add_f64 v[119:120], v[125:126], v[127:128]
	v_fma_f64 v[73:74], v[24:25], s[2:3], v[77:78]
	v_fma_f64 v[77:78], v[75:76], s[14:15], v[71:72]
	v_add_f64 v[71:72], v[26:27], v[109:110]
	v_add_f64 v[26:27], v[0:1], v[113:114]
	v_fma_f64 v[111:112], v[111:112], -0.5, v[0:1]
	v_add_f64 v[123:124], v[117:118], -v[121:122]
	v_fma_f64 v[30:31], v[99:100], s[10:11], v[30:31]
	v_add_f64 v[42:43], v[42:43], -v[103:104]
	v_add_f64 v[103:104], v[107:108], -v[109:110]
	v_fma_f64 v[16:17], v[75:76], s[6:7], v[16:17]
	v_fma_f64 v[75:76], v[119:120], s[2:3], v[105:106]
	;; [unrolled: 1-line block ×4, first 2 shown]
	v_add_f64 v[26:27], v[26:27], v[44:45]
	v_fma_f64 v[109:110], v[123:124], s[10:11], v[111:112]
	v_add_f64 v[107:108], v[113:114], -v[44:45]
	v_add_f64 v[125:126], v[115:116], -v[48:49]
	v_fma_f64 v[30:31], v[40:41], s[14:15], v[30:31]
	v_add_f64 v[40:41], v[42:43], v[103:104]
	v_add_f64 v[42:43], v[113:114], v[115:116]
	v_add_f64 v[127:128], v[46:47], -v[50:51]
	v_fma_f64 v[105:106], v[99:100], s[6:7], v[105:106]
	v_fma_f64 v[18:19], v[99:100], s[14:15], v[18:19]
	;; [unrolled: 1-line block ×3, first 2 shown]
	v_add_f64 v[24:25], v[107:108], v[125:126]
	v_fma_f64 v[103:104], v[101:102], s[2:3], v[77:78]
	v_fma_f64 v[107:108], v[101:102], s[2:3], v[16:17]
	v_add_f64 v[16:17], v[26:27], v[48:49]
	v_fma_f64 v[0:1], v[42:43], -0.5, v[0:1]
	v_fma_f64 v[26:27], v[127:128], s[14:15], v[109:110]
	v_fma_f64 v[101:102], v[119:120], s[2:3], v[30:31]
	v_add_f64 v[28:29], v[46:47], v[50:51]
	v_add_f64 v[30:31], v[117:118], v[121:122]
	v_fma_f64 v[42:43], v[123:124], s[4:5], v[111:112]
	v_add_f64 v[77:78], v[48:49], -v[115:116]
	v_add_f64 v[111:112], v[16:17], v[115:116]
	v_add_f64 v[16:17], v[113:114], -v[115:116]
	v_fma_f64 v[115:116], v[24:25], s[2:3], v[26:27]
	v_fma_f64 v[105:106], v[40:41], s[2:3], v[105:106]
	v_fma_f64 v[28:29], v[28:29], -0.5, v[2:3]
	v_fma_f64 v[30:31], v[30:31], -0.5, v[2:3]
	v_add_f64 v[2:3], v[2:3], v[117:118]
	v_fma_f64 v[26:27], v[127:128], s[6:7], v[42:43]
	v_add_f64 v[42:43], v[44:45], -v[48:49]
	v_fma_f64 v[109:110], v[40:41], s[2:3], v[18:19]
	v_fma_f64 v[18:19], v[127:128], s[4:5], v[0:1]
	v_add_f64 v[40:41], v[44:45], -v[113:114]
	v_fma_f64 v[0:1], v[127:128], s[10:11], v[0:1]
	v_fma_f64 v[44:45], v[16:17], s[4:5], v[28:29]
	v_add_f64 v[2:3], v[2:3], v[46:47]
	v_add_f64 v[48:49], v[117:118], -v[46:47]
	v_fma_f64 v[28:29], v[16:17], s[10:11], v[28:29]
	v_add_f64 v[46:47], v[46:47], -v[117:118]
	v_fma_f64 v[113:114], v[42:43], s[10:11], v[30:31]
	v_add_f64 v[117:118], v[50:51], -v[121:122]
	v_fma_f64 v[119:120], v[24:25], s[2:3], v[26:27]
	v_fma_f64 v[24:25], v[42:43], s[4:5], v[30:31]
	v_fma_f64 v[18:19], v[123:124], s[14:15], v[18:19]
	v_add_f64 v[40:41], v[40:41], v[77:78]
	v_fma_f64 v[0:1], v[123:124], s[6:7], v[0:1]
	v_fma_f64 v[26:27], v[42:43], s[6:7], v[44:45]
	;; [unrolled: 1-line block ×4, first 2 shown]
	v_add_f64 v[44:45], v[46:47], v[117:118]
	v_fma_f64 v[16:17], v[16:17], s[14:15], v[24:25]
	v_add_f64 v[77:78], v[121:122], -v[50:51]
	v_add_f64 v[2:3], v[2:3], v[50:51]
	v_fma_f64 v[123:124], v[40:41], s[2:3], v[18:19]
	v_add_f64 v[18:19], v[34:35], v[12:13]
	v_fma_f64 v[127:128], v[40:41], s[2:3], v[0:1]
	;; [unrolled: 2-line block ×3, first 2 shown]
	v_fma_f64 v[129:130], v[44:45], s[2:3], v[16:17]
	v_add_f64 v[42:43], v[32:33], -v[34:35]
	v_add_f64 v[44:45], v[14:15], -v[12:13]
	v_add_f64 v[30:31], v[48:49], v[77:78]
	v_add_f64 v[113:114], v[2:3], v[121:122]
	;; [unrolled: 1-line block ×3, first 2 shown]
	v_fma_f64 v[16:17], v[18:19], -0.5, v[8:9]
	v_fma_f64 v[18:19], v[0:1], -0.5, v[8:9]
	v_add_f64 v[0:1], v[38:39], v[22:23]
	v_mov_b32_e32 v52, 4
	v_add_f64 v[42:43], v[42:43], v[44:45]
	v_mad_u32_u24 v44, v94, s17, 0
	v_lshlrev_b32_sdwa v45, v52, v95 dst_sel:DWORD dst_unused:UNUSED_PAD src0_sel:DWORD src1_sel:BYTE_0
	v_fma_f64 v[117:118], v[30:31], s[2:3], v[26:27]
	v_fma_f64 v[121:122], v[30:31], s[2:3], v[28:29]
	v_add_f64 v[24:25], v[38:39], -v[22:23]
	v_add_f64 v[40:41], v[36:37], -v[20:21]
	v_fma_f64 v[26:27], v[2:3], -0.5, v[10:11]
	v_add_f64 v[28:29], v[32:33], -v[14:15]
	v_add_f64 v[30:31], v[34:35], -v[12:13]
	v_add3_u32 v79, v44, v45, v86
	v_fma_f64 v[44:45], v[0:1], -0.5, v[10:11]
	v_add_f64 v[2:3], v[38:39], -v[36:37]
	v_add_f64 v[46:47], v[22:23], -v[20:21]
	v_fma_f64 v[0:1], v[24:25], s[10:11], v[16:17]
	v_add_f64 v[50:51], v[34:35], -v[32:33]
	v_fma_f64 v[48:49], v[28:29], s[4:5], v[26:27]
	v_add_f64 v[77:78], v[12:13], -v[14:15]
	v_add_f64 v[94:95], v[36:37], -v[38:39]
	;; [unrolled: 1-line block ×3, first 2 shown]
	v_fma_f64 v[133:134], v[40:41], s[4:5], v[18:19]
	v_fma_f64 v[135:136], v[30:31], s[10:11], v[44:45]
	v_add_f64 v[46:47], v[2:3], v[46:47]
	v_fma_f64 v[0:1], v[40:41], s[14:15], v[0:1]
	v_fma_f64 v[2:3], v[30:31], s[6:7], v[48:49]
	v_add_f64 v[50:51], v[50:51], v[77:78]
	ds_write_b128 v79, v[4:7]
	ds_write_b128 v79, v[53:56] offset:80
	v_add_f64 v[48:49], v[94:95], v[131:132]
	v_fma_f64 v[77:78], v[24:25], s[14:15], v[133:134]
	v_fma_f64 v[94:95], v[28:29], s[6:7], v[135:136]
	v_mad_u32_u24 v53, v92, s17, 0
	v_fma_f64 v[0:1], v[42:43], s[2:3], v[0:1]
	v_fma_f64 v[2:3], v[46:47], s[2:3], v[2:3]
	v_lshlrev_b32_sdwa v54, v52, v93 dst_sel:DWORD dst_unused:UNUSED_PAD src0_sel:DWORD src1_sel:BYTE_0
	v_add3_u32 v53, v53, v54, v86
	ds_write_b128 v79, v[61:64] offset:160
	ds_write_b128 v79, v[65:68] offset:240
	;; [unrolled: 1-line block ×3, first 2 shown]
	v_fma_f64 v[4:5], v[50:51], s[2:3], v[77:78]
	v_fma_f64 v[6:7], v[48:49], s[2:3], v[94:95]
	ds_write_b128 v53, v[69:72]
	ds_write_b128 v53, v[73:76] offset:80
	ds_write_b128 v53, v[103:106] offset:160
	;; [unrolled: 1-line block ×4, first 2 shown]
	v_mad_u32_u24 v53, v97, s17, 0
	v_lshlrev_b32_sdwa v54, v52, v98 dst_sel:DWORD dst_unused:UNUSED_PAD src0_sel:DWORD src1_sel:BYTE_0
	v_add3_u32 v53, v53, v54, v86
	ds_write_b128 v53, v[111:114]
	ds_write_b128 v53, v[115:118] offset:80
	ds_write_b128 v53, v[123:126] offset:160
	;; [unrolled: 1-line block ×4, first 2 shown]
	s_and_saveexec_b64 s[10:11], vcc
	s_cbranch_execz .LBB0_22
; %bb.21:
	v_add_f64 v[10:11], v[10:11], v[38:39]
	v_add_f64 v[8:9], v[8:9], v[32:33]
	v_mul_f64 v[55:56], v[40:41], s[6:7]
	v_mul_f64 v[40:41], v[40:41], s[4:5]
	v_mul_f64 v[57:58], v[30:31], s[4:5]
	v_mul_f64 v[53:54], v[24:25], s[4:5]
	v_mul_f64 v[59:60], v[28:29], s[4:5]
	v_mul_f64 v[24:25], v[24:25], s[6:7]
	v_add_f64 v[10:11], v[10:11], v[36:37]
	v_add_f64 v[8:9], v[8:9], v[34:35]
	v_mul_f64 v[28:29], v[28:29], s[6:7]
	v_add_f64 v[18:19], v[18:19], -v[40:41]
	v_add_f64 v[38:39], v[57:58], v[44:45]
	v_mul_f64 v[30:31], v[30:31], s[6:7]
	v_add_f64 v[26:27], v[26:27], -v[59:60]
	v_add_f64 v[16:17], v[16:17], v[53:54]
	v_add_f64 v[20:21], v[10:11], v[20:21]
	;; [unrolled: 1-line block ×3, first 2 shown]
	v_mul_f64 v[32:33], v[50:51], s[2:3]
	v_mul_f64 v[36:37], v[48:49], s[2:3]
	v_add_f64 v[28:29], v[38:39], -v[28:29]
	v_add_f64 v[12:13], v[24:25], v[18:19]
	v_mul_f64 v[42:43], v[42:43], s[2:3]
	v_mul_f64 v[34:35], v[46:47], s[2:3]
	v_add_f64 v[26:27], v[26:27], -v[30:31]
	v_add_f64 v[24:25], v[55:56], v[16:17]
	v_add_f64 v[20:21], v[20:21], v[22:23]
	;; [unrolled: 1-line block ×5, first 2 shown]
	v_mul_lo_u16_sdwa v12, v91, s16 dst_sel:DWORD dst_unused:UNUSED_PAD src0_sel:BYTE_0 src1_sel:DWORD
	v_lshrrev_b16_e32 v12, 10, v12
	v_add_f64 v[16:17], v[34:35], v[26:27]
	v_add_f64 v[14:15], v[42:43], v[24:25]
	v_mad_u32_u24 v12, v12, s17, 0
	v_lshlrev_b32_e32 v13, 4, v96
	v_add3_u32 v12, v12, v13, v86
	ds_write_b128 v12, v[18:21]
	ds_write_b128 v12, v[0:3] offset:80
	ds_write_b128 v12, v[4:7] offset:160
	;; [unrolled: 1-line block ×4, first 2 shown]
.LBB0_22:
	s_or_b64 exec, exec, s[10:11]
	v_mov_b32_e32 v8, 41
	v_mul_lo_u16_sdwa v8, v80, v8 dst_sel:DWORD dst_unused:UNUSED_PAD src0_sel:BYTE_0 src1_sel:DWORD
	v_lshrrev_b16_e32 v12, 10, v8
	v_mul_lo_u16_e32 v8, 25, v12
	v_sub_u16_e32 v13, v80, v8
	v_mov_b32_e32 v8, 15
	v_mul_u32_u24_sdwa v8, v13, v8 dst_sel:DWORD dst_unused:UNUSED_PAD src0_sel:BYTE_0 src1_sel:DWORD
	v_lshlrev_b32_e32 v50, 4, v8
	s_waitcnt lgkmcnt(0)
	s_barrier
	global_load_dwordx4 v[8:11], v50, s[8:9] offset:320
	global_load_dwordx4 v[14:17], v50, s[8:9] offset:336
	;; [unrolled: 1-line block ×15, first 2 shown]
	ds_read_b128 v[73:76], v87
	ds_read_b128 v[92:95], v81 offset:1200
	ds_read_b128 v[96:99], v81 offset:2400
	;; [unrolled: 1-line block ×15, first 2 shown]
	s_mov_b32 s2, 0x667f3bcd
	s_mov_b32 s3, 0xbfe6a09e
	;; [unrolled: 1-line block ×12, first 2 shown]
	v_lshlrev_b32_sdwa v13, v52, v13 dst_sel:DWORD dst_unused:UNUSED_PAD src0_sel:DWORD src1_sel:BYTE_0
	s_waitcnt vmcnt(0) lgkmcnt(0)
	s_barrier
	v_cmp_gt_u32_e32 vcc, 25, v80
	v_mul_f64 v[50:51], v[94:95], v[10:11]
	v_mul_f64 v[10:11], v[92:93], v[10:11]
	;; [unrolled: 1-line block ×28, first 2 shown]
	v_fma_f64 v[50:51], v[92:93], v[8:9], v[50:51]
	v_fma_f64 v[8:9], v[94:95], v[8:9], -v[10:11]
	v_fma_f64 v[10:11], v[96:97], v[14:15], v[77:78]
	v_fma_f64 v[14:15], v[98:99], v[14:15], -v[16:17]
	;; [unrolled: 2-line block ×14, first 2 shown]
	v_mul_f64 v[176:177], v[150:151], v[71:72]
	v_mul_f64 v[71:72], v[148:149], v[71:72]
	v_add_f64 v[36:37], v[73:74], -v[36:37]
	v_add_f64 v[38:39], v[75:76], -v[38:39]
	v_add_f64 v[57:58], v[22:23], -v[57:58]
	v_add_f64 v[46:47], v[14:15], -v[46:47]
	v_add_f64 v[55:56], v[20:21], -v[55:56]
	v_add_f64 v[65:66], v[30:31], -v[65:66]
	v_fma_f64 v[67:68], v[148:149], v[69:70], v[176:177]
	v_fma_f64 v[69:70], v[150:151], v[69:70], -v[71:72]
	v_add_f64 v[44:45], v[10:11], -v[44:45]
	v_add_f64 v[63:64], v[28:29], -v[63:64]
	v_fma_f64 v[71:72], v[73:74], 2.0, -v[36:37]
	v_fma_f64 v[73:74], v[75:76], 2.0, -v[38:39]
	;; [unrolled: 1-line block ×8, first 2 shown]
	v_add_f64 v[40:41], v[50:51], -v[40:41]
	v_add_f64 v[42:43], v[8:9], -v[42:43]
	;; [unrolled: 1-line block ×7, first 2 shown]
	v_add_f64 v[57:58], v[36:37], v[57:58]
	v_add_f64 v[55:56], v[38:39], -v[55:56]
	v_add_f64 v[30:31], v[14:15], -v[30:31]
	v_add_f64 v[65:66], v[44:45], v[65:66]
	v_add_f64 v[63:64], v[46:47], -v[63:64]
	v_add_f64 v[59:60], v[24:25], -v[59:60]
	v_add_f64 v[67:68], v[32:33], -v[67:68]
	v_fma_f64 v[8:9], v[8:9], 2.0, -v[42:43]
	v_fma_f64 v[26:27], v[26:27], 2.0, -v[61:62]
	;; [unrolled: 1-line block ×4, first 2 shown]
	v_add_f64 v[20:21], v[71:72], -v[20:21]
	v_add_f64 v[28:29], v[10:11], -v[28:29]
	v_fma_f64 v[73:74], v[73:74], 2.0, -v[22:23]
	v_fma_f64 v[36:37], v[36:37], 2.0, -v[57:58]
	;; [unrolled: 1-line block ×6, first 2 shown]
	v_add_f64 v[61:62], v[40:41], v[61:62]
	v_add_f64 v[69:70], v[48:49], v[69:70]
	v_fma_f64 v[50:51], v[50:51], 2.0, -v[40:41]
	v_fma_f64 v[24:25], v[24:25], 2.0, -v[59:60]
	;; [unrolled: 1-line block ×6, first 2 shown]
	v_add_f64 v[26:27], v[8:9], -v[26:27]
	v_add_f64 v[59:60], v[42:43], -v[59:60]
	;; [unrolled: 1-line block ×4, first 2 shown]
	v_fma_f64 v[40:41], v[40:41], 2.0, -v[61:62]
	v_fma_f64 v[48:49], v[48:49], 2.0, -v[69:70]
	v_fma_f64 v[75:76], v[44:45], s[2:3], v[36:37]
	v_fma_f64 v[77:78], v[46:47], s[2:3], v[38:39]
	v_add_f64 v[94:95], v[73:74], -v[14:15]
	v_fma_f64 v[14:15], v[63:64], s[4:5], v[55:56]
	v_fma_f64 v[8:9], v[8:9], 2.0, -v[26:27]
	v_fma_f64 v[42:43], v[42:43], 2.0, -v[59:60]
	;; [unrolled: 1-line block ×4, first 2 shown]
	v_add_f64 v[92:93], v[71:72], -v[10:11]
	v_fma_f64 v[10:11], v[65:66], s[4:5], v[57:58]
	v_fma_f64 v[75:76], v[46:47], s[4:5], v[75:76]
	v_fma_f64 v[77:78], v[44:45], s[2:3], v[77:78]
	v_add_f64 v[96:97], v[20:21], v[30:31]
	v_fma_f64 v[100:101], v[65:66], s[2:3], v[14:15]
	v_fma_f64 v[14:15], v[48:49], s[2:3], v[40:41]
	v_add_f64 v[98:99], v[22:23], -v[28:29]
	v_add_f64 v[32:33], v[16:17], -v[32:33]
	;; [unrolled: 1-line block ×3, first 2 shown]
	v_fma_f64 v[30:31], v[71:72], 2.0, -v[92:93]
	v_fma_f64 v[44:45], v[73:74], 2.0, -v[94:95]
	v_fma_f64 v[73:74], v[63:64], s[4:5], v[10:11]
	v_fma_f64 v[10:11], v[36:37], 2.0, -v[75:76]
	v_fma_f64 v[36:37], v[38:39], 2.0, -v[77:78]
	;; [unrolled: 1-line block ×3, first 2 shown]
	v_fma_f64 v[20:21], v[53:54], s[2:3], v[42:43]
	v_fma_f64 v[28:29], v[67:68], s[4:5], v[59:60]
	v_add_f64 v[65:66], v[8:9], -v[18:19]
	v_fma_f64 v[71:72], v[53:54], s[4:5], v[14:15]
	v_fma_f64 v[46:47], v[22:23], 2.0, -v[98:99]
	v_fma_f64 v[22:23], v[69:70], s[4:5], v[61:62]
	v_add_f64 v[104:105], v[26:27], -v[32:33]
	v_fma_f64 v[50:51], v[50:51], 2.0, -v[24:25]
	v_fma_f64 v[16:17], v[16:17], 2.0, -v[32:33]
	v_fma_f64 v[53:54], v[48:49], s[2:3], v[20:21]
	v_add_f64 v[102:103], v[24:25], v[34:35]
	v_fma_f64 v[69:70], v[69:70], s[2:3], v[28:29]
	v_fma_f64 v[8:9], v[8:9], 2.0, -v[65:66]
	v_fma_f64 v[20:21], v[40:41], 2.0, -v[71:72]
	v_fma_f64 v[67:68], v[67:68], s[4:5], v[22:23]
	v_fma_f64 v[22:23], v[26:27], 2.0, -v[104:105]
	v_fma_f64 v[55:56], v[55:56], 2.0, -v[100:101]
	v_add_f64 v[63:64], v[50:51], -v[16:17]
	v_fma_f64 v[18:19], v[42:43], 2.0, -v[53:54]
	v_fma_f64 v[24:25], v[24:25], 2.0, -v[102:103]
	;; [unrolled: 1-line block ×3, first 2 shown]
	v_add_f64 v[16:17], v[44:45], -v[8:9]
	v_fma_f64 v[8:9], v[20:21], s[6:7], v[10:11]
	v_fma_f64 v[57:58], v[57:58], 2.0, -v[73:74]
	v_fma_f64 v[28:29], v[61:62], 2.0, -v[67:68]
	v_fma_f64 v[40:41], v[22:23], s[2:3], v[46:47]
	v_fma_f64 v[32:33], v[18:19], s[6:7], v[36:37]
	;; [unrolled: 1-line block ×4, first 2 shown]
	v_fma_f64 v[14:15], v[50:51], 2.0, -v[63:64]
	v_fma_f64 v[18:19], v[18:19], s[10:11], v[8:9]
	v_fma_f64 v[8:9], v[71:72], s[10:11], v[75:76]
	;; [unrolled: 1-line block ×8, first 2 shown]
	v_fma_f64 v[34:35], v[10:11], 2.0, -v[18:19]
	v_fma_f64 v[10:11], v[53:54], s[10:11], v[77:78]
	v_fma_f64 v[26:27], v[26:27], s[16:17], v[42:43]
	;; [unrolled: 1-line block ×4, first 2 shown]
	v_add_f64 v[14:15], v[30:31], -v[14:15]
	v_fma_f64 v[20:21], v[20:21], s[14:15], v[32:33]
	v_fma_f64 v[40:41], v[46:47], 2.0, -v[24:25]
	v_add_f64 v[46:47], v[92:93], v[65:66]
	v_add_f64 v[48:49], v[94:95], -v[63:64]
	v_fma_f64 v[32:33], v[44:45], 2.0, -v[16:17]
	v_fma_f64 v[44:45], v[55:56], 2.0, -v[28:29]
	v_fma_f64 v[53:54], v[53:54], s[16:17], v[8:9]
	v_fma_f64 v[55:56], v[71:72], s[6:7], v[10:11]
	v_fma_f64 v[42:43], v[57:58], 2.0, -v[26:27]
	v_fma_f64 v[57:58], v[104:105], s[4:5], v[50:51]
	v_fma_f64 v[59:60], v[102:103], s[2:3], v[59:60]
	;; [unrolled: 1-line block ×4, first 2 shown]
	v_fma_f64 v[30:31], v[30:31], 2.0, -v[14:15]
	v_fma_f64 v[36:37], v[36:37], 2.0, -v[20:21]
	;; [unrolled: 1-line block ×7, first 2 shown]
	s_movk_i32 s2, 0x1900
	v_fma_f64 v[69:70], v[96:97], 2.0, -v[57:58]
	v_fma_f64 v[71:72], v[98:99], 2.0, -v[59:60]
	v_mad_u32_u24 v12, v12, s2, 0
	v_fma_f64 v[73:74], v[73:74], 2.0, -v[8:9]
	v_fma_f64 v[75:76], v[100:101], 2.0, -v[10:11]
	v_add3_u32 v12, v12, v13, v86
	ds_write_b128 v12, v[30:33]
	ds_write_b128 v12, v[34:37] offset:400
	ds_write_b128 v12, v[38:41] offset:800
	;; [unrolled: 1-line block ×15, first 2 shown]
	s_waitcnt lgkmcnt(0)
	s_barrier
	ds_read_b128 v[28:31], v87
	ds_read_b128 v[24:27], v81 offset:1200
	ds_read_b128 v[60:63], v81 offset:12800
	ds_read_b128 v[44:47], v81 offset:14000
	ds_read_b128 v[64:67], v81 offset:7600
	ds_read_b128 v[48:51], v81 offset:8800
	ds_read_b128 v[20:23], v81 offset:2400
	ds_read_b128 v[16:19], v81 offset:3600
	ds_read_b128 v[52:55], v81 offset:15200
	ds_read_b128 v[40:43], v81 offset:16400
	ds_read_b128 v[68:71], v81 offset:6400
	ds_read_b128 v[12:15], v81 offset:4800
	ds_read_b128 v[56:59], v81 offset:10000
	ds_read_b128 v[36:39], v81 offset:11200
	ds_read_b128 v[32:35], v81 offset:17600
	s_and_saveexec_b64 s[2:3], vcc
	s_cbranch_execz .LBB0_24
; %bb.23:
	ds_read_b128 v[8:11], v81 offset:6000
	ds_read_b128 v[0:3], v81 offset:12400
	;; [unrolled: 1-line block ×3, first 2 shown]
.LBB0_24:
	s_or_b64 exec, exec, s[2:3]
	v_lshlrev_b32_e32 v72, 1, v80
	v_mov_b32_e32 v73, 0
	v_lshlrev_b64 v[74:75], 4, v[72:73]
	v_mov_b32_e32 v120, s9
	v_add_co_u32_e64 v74, s[2:3], s8, v74
	v_addc_co_u32_e64 v75, s[2:3], v120, v75, s[2:3]
	s_movk_i32 s4, 0x18b0
	v_add_co_u32_e64 v78, s[2:3], s4, v74
	v_addc_co_u32_e64 v79, s[2:3], 0, v75, s[2:3]
	s_movk_i32 s10, 0x1000
	v_add_co_u32_e64 v86, s[2:3], s10, v74
	v_addc_co_u32_e64 v87, s[2:3], 0, v75, s[2:3]
	global_load_dwordx4 v[74:77], v[86:87], off offset:2224
	global_load_dwordx4 v[92:95], v[78:79], off offset:16
	v_lshlrev_b32_e32 v78, 1, v89
	v_mov_b32_e32 v79, v73
	v_lshlrev_b64 v[78:79], 4, v[78:79]
	v_add_u32_e32 v72, 0x258, v72
	v_add_co_u32_e64 v86, s[2:3], s8, v78
	v_addc_co_u32_e64 v87, s[2:3], v120, v79, s[2:3]
	v_add_co_u32_e64 v78, s[2:3], s4, v86
	v_addc_co_u32_e64 v79, s[2:3], 0, v87, s[2:3]
	;; [unrolled: 2-line block ×3, first 2 shown]
	global_load_dwordx4 v[96:99], v[86:87], off offset:2224
	global_load_dwordx4 v[100:103], v[78:79], off offset:16
	v_lshlrev_b32_e32 v78, 1, v90
	v_mov_b32_e32 v79, v73
	v_lshlrev_b64 v[78:79], 4, v[78:79]
	s_mov_b32 s5, 0x3febb67a
	v_add_co_u32_e64 v86, s[2:3], s8, v78
	v_addc_co_u32_e64 v87, s[2:3], v120, v79, s[2:3]
	v_add_co_u32_e64 v78, s[2:3], s4, v86
	v_addc_co_u32_e64 v79, s[2:3], 0, v87, s[2:3]
	;; [unrolled: 2-line block ×3, first 2 shown]
	global_load_dwordx4 v[104:107], v[86:87], off offset:2224
	global_load_dwordx4 v[108:111], v[78:79], off offset:16
	v_lshlrev_b32_e32 v78, 1, v91
	v_mov_b32_e32 v79, v73
	v_lshlrev_b64 v[78:79], 4, v[78:79]
	v_add_co_u32_e64 v86, s[2:3], s8, v78
	v_addc_co_u32_e64 v87, s[2:3], v120, v79, s[2:3]
	v_add_co_u32_e64 v78, s[2:3], s4, v86
	v_addc_co_u32_e64 v79, s[2:3], 0, v87, s[2:3]
	;; [unrolled: 2-line block ×3, first 2 shown]
	global_load_dwordx4 v[112:115], v[86:87], off offset:2224
	global_load_dwordx4 v[116:119], v[78:79], off offset:16
	v_lshlrev_b64 v[78:79], 4, v[72:73]
	v_add_co_u32_e64 v72, s[2:3], s8, v78
	v_addc_co_u32_e64 v86, s[2:3], v120, v79, s[2:3]
	v_add_co_u32_e64 v78, s[2:3], s10, v72
	v_addc_co_u32_e64 v79, s[2:3], 0, v86, s[2:3]
	global_load_dwordx4 v[120:123], v[78:79], off offset:2224
	v_add_co_u32_e64 v78, s[2:3], s4, v72
	v_addc_co_u32_e64 v79, s[2:3], 0, v86, s[2:3]
	global_load_dwordx4 v[124:127], v[78:79], off offset:16
	v_lshl_add_u32 v72, v85, 4, v88
	s_mov_b32 s2, 0xe8584caa
	s_mov_b32 s3, 0xbfebb67a
	;; [unrolled: 1-line block ×3, first 2 shown]
	s_waitcnt vmcnt(0) lgkmcnt(0)
	s_barrier
	v_mul_f64 v[78:79], v[70:71], v[76:77]
	v_mul_f64 v[76:77], v[68:69], v[76:77]
	;; [unrolled: 1-line block ×4, first 2 shown]
	v_fma_f64 v[68:69], v[68:69], v[74:75], v[78:79]
	v_fma_f64 v[70:71], v[70:71], v[74:75], -v[76:77]
	v_fma_f64 v[60:61], v[60:61], v[92:93], v[86:87]
	v_fma_f64 v[62:63], v[62:63], v[92:93], -v[89:90]
	v_mul_f64 v[94:95], v[66:67], v[98:99]
	v_mul_f64 v[74:75], v[46:47], v[102:103]
	;; [unrolled: 1-line block ×4, first 2 shown]
	v_fma_f64 v[64:65], v[64:65], v[96:97], v[94:95]
	v_fma_f64 v[44:45], v[44:45], v[100:101], v[74:75]
	v_fma_f64 v[46:47], v[46:47], v[100:101], -v[76:77]
	v_fma_f64 v[66:67], v[66:67], v[96:97], -v[98:99]
	v_mul_f64 v[78:79], v[50:51], v[106:107]
	v_mul_f64 v[85:86], v[48:49], v[106:107]
	;; [unrolled: 1-line block ×4, first 2 shown]
	v_fma_f64 v[48:49], v[48:49], v[104:105], v[78:79]
	v_fma_f64 v[50:51], v[50:51], v[104:105], -v[85:86]
	v_fma_f64 v[52:53], v[52:53], v[108:109], v[74:75]
	v_add_f64 v[85:86], v[68:69], v[60:61]
	v_fma_f64 v[54:55], v[54:55], v[108:109], -v[87:88]
	v_mul_f64 v[89:90], v[58:59], v[114:115]
	v_mul_f64 v[76:77], v[56:57], v[114:115]
	;; [unrolled: 1-line block ×3, first 2 shown]
	v_fma_f64 v[74:75], v[56:57], v[112:113], v[89:90]
	v_mul_f64 v[56:57], v[40:41], v[118:119]
	v_fma_f64 v[58:59], v[58:59], v[112:113], -v[76:77]
	v_fma_f64 v[78:79], v[40:41], v[116:117], v[78:79]
	v_mul_f64 v[76:77], v[38:39], v[122:123]
	v_mul_f64 v[40:41], v[36:37], v[122:123]
	v_mul_f64 v[89:90], v[32:33], v[126:127]
	v_mul_f64 v[87:88], v[34:35], v[126:127]
	v_fma_f64 v[91:92], v[42:43], v[116:117], -v[56:57]
	v_add_f64 v[42:43], v[28:29], v[68:69]
	v_fma_f64 v[76:77], v[36:37], v[120:121], v[76:77]
	v_fma_f64 v[36:37], v[85:86], -0.5, v[28:29]
	v_add_f64 v[56:57], v[70:71], -v[62:63]
	v_fma_f64 v[85:86], v[38:39], v[120:121], -v[40:41]
	v_fma_f64 v[89:90], v[34:35], v[124:125], -v[89:90]
	v_add_f64 v[34:35], v[70:71], v[62:63]
	v_add_f64 v[38:39], v[30:31], v[70:71]
	;; [unrolled: 1-line block ×3, first 2 shown]
	v_fma_f64 v[87:88], v[32:33], v[124:125], v[87:88]
	v_add_f64 v[28:29], v[42:43], v[60:61]
	v_fma_f64 v[32:33], v[56:57], s[2:3], v[36:37]
	v_add_f64 v[60:61], v[68:69], -v[60:61]
	v_fma_f64 v[36:37], v[56:57], s[4:5], v[36:37]
	v_fma_f64 v[42:43], v[34:35], -0.5, v[30:31]
	v_add_f64 v[56:57], v[24:25], v[64:65]
	v_add_f64 v[30:31], v[38:39], v[62:63]
	;; [unrolled: 1-line block ×3, first 2 shown]
	v_fma_f64 v[68:69], v[40:41], -0.5, v[24:25]
	v_add_f64 v[70:71], v[66:67], -v[46:47]
	v_add_f64 v[66:67], v[26:27], v[66:67]
	v_fma_f64 v[34:35], v[60:61], s[4:5], v[42:43]
	v_fma_f64 v[38:39], v[60:61], s[2:3], v[42:43]
	v_add_f64 v[24:25], v[56:57], v[44:45]
	v_add_f64 v[42:43], v[48:49], v[52:53]
	v_fma_f64 v[56:57], v[62:63], -0.5, v[26:27]
	v_add_f64 v[60:61], v[64:65], -v[44:45]
	v_fma_f64 v[40:41], v[70:71], s[2:3], v[68:69]
	v_fma_f64 v[44:45], v[70:71], s[4:5], v[68:69]
	v_add_f64 v[62:63], v[50:51], v[54:55]
	v_add_f64 v[64:65], v[20:21], v[48:49]
	;; [unrolled: 1-line block ×4, first 2 shown]
	v_fma_f64 v[66:67], v[42:43], -0.5, v[20:21]
	v_add_f64 v[68:69], v[50:51], -v[54:55]
	v_fma_f64 v[42:43], v[60:61], s[4:5], v[56:57]
	v_fma_f64 v[46:47], v[60:61], s[2:3], v[56:57]
	v_add_f64 v[50:51], v[22:23], v[50:51]
	v_fma_f64 v[56:57], v[62:63], -0.5, v[22:23]
	v_add_f64 v[60:61], v[48:49], -v[52:53]
	v_add_f64 v[20:21], v[64:65], v[52:53]
	v_add_f64 v[62:63], v[16:17], v[74:75]
	v_fma_f64 v[64:65], v[70:71], -0.5, v[16:17]
	v_add_f64 v[70:71], v[58:59], -v[91:92]
	v_fma_f64 v[48:49], v[68:69], s[2:3], v[66:67]
	v_fma_f64 v[52:53], v[68:69], s[4:5], v[66:67]
	v_add_f64 v[22:23], v[50:51], v[54:55]
	v_fma_f64 v[50:51], v[60:61], s[4:5], v[56:57]
	v_add_f64 v[66:67], v[58:59], v[91:92]
	;; [unrolled: 2-line block ×3, first 2 shown]
	v_add_f64 v[62:63], v[76:77], v[87:88]
	v_fma_f64 v[56:57], v[70:71], s[2:3], v[64:65]
	v_fma_f64 v[60:61], v[70:71], s[4:5], v[64:65]
	v_add_f64 v[64:65], v[85:86], v[89:90]
	v_add_f64 v[58:59], v[18:19], v[58:59]
	v_fma_f64 v[66:67], v[66:67], -0.5, v[18:19]
	v_add_f64 v[68:69], v[74:75], -v[78:79]
	v_add_f64 v[70:71], v[12:13], v[76:77]
	v_fma_f64 v[74:75], v[62:63], -0.5, v[12:13]
	v_add_f64 v[78:79], v[85:86], -v[89:90]
	;; [unrolled: 3-line block ×3, first 2 shown]
	v_add_f64 v[18:19], v[58:59], v[91:92]
	v_fma_f64 v[58:59], v[68:69], s[4:5], v[66:67]
	v_fma_f64 v[62:63], v[68:69], s[2:3], v[66:67]
	v_add_f64 v[12:13], v[70:71], v[87:88]
	v_fma_f64 v[64:65], v[78:79], s[2:3], v[74:75]
	v_fma_f64 v[68:69], v[78:79], s[4:5], v[74:75]
	;; [unrolled: 3-line block ×3, first 2 shown]
	ds_write_b128 v81, v[28:31]
	ds_write_b128 v81, v[32:35] offset:6400
	ds_write_b128 v81, v[36:39] offset:12800
	;; [unrolled: 1-line block ×14, first 2 shown]
	s_and_saveexec_b64 s[6:7], vcc
	s_cbranch_execz .LBB0_26
; %bb.25:
	v_not_b32_e32 v12, 24
	v_mov_b32_e32 v13, 0x177
	v_cndmask_b32_e32 v12, v12, v13, vcc
	v_add_lshl_u32 v72, v80, v12, 1
	v_lshlrev_b64 v[12:13], 4, v[72:73]
	v_mov_b32_e32 v14, s9
	v_add_co_u32_e32 v12, vcc, s8, v12
	v_addc_co_u32_e32 v13, vcc, v14, v13, vcc
	v_add_co_u32_e32 v20, vcc, 0x18b0, v12
	v_addc_co_u32_e32 v21, vcc, 0, v13, vcc
	;; [unrolled: 2-line block ×3, first 2 shown]
	global_load_dwordx4 v[12:15], v[22:23], off offset:2224
	global_load_dwordx4 v[16:19], v[20:21], off offset:16
	s_waitcnt vmcnt(1)
	v_mul_f64 v[20:21], v[0:1], v[14:15]
	s_waitcnt vmcnt(0)
	v_mul_f64 v[22:23], v[4:5], v[18:19]
	v_mul_f64 v[14:15], v[2:3], v[14:15]
	v_mul_f64 v[18:19], v[6:7], v[18:19]
	v_fma_f64 v[2:3], v[2:3], v[12:13], -v[20:21]
	v_fma_f64 v[6:7], v[6:7], v[16:17], -v[22:23]
	v_fma_f64 v[0:1], v[0:1], v[12:13], v[14:15]
	v_fma_f64 v[4:5], v[4:5], v[16:17], v[18:19]
	v_add_f64 v[18:19], v[10:11], v[2:3]
	v_add_f64 v[12:13], v[2:3], v[6:7]
	;; [unrolled: 1-line block ×3, first 2 shown]
	v_add_f64 v[16:17], v[0:1], -v[4:5]
	v_add_f64 v[0:1], v[8:9], v[0:1]
	v_fma_f64 v[10:11], v[12:13], -0.5, v[10:11]
	v_add_f64 v[12:13], v[2:3], -v[6:7]
	v_fma_f64 v[14:15], v[14:15], -0.5, v[8:9]
	v_add_f64 v[2:3], v[18:19], v[6:7]
	v_add_f64 v[0:1], v[0:1], v[4:5]
	v_fma_f64 v[6:7], v[16:17], s[2:3], v[10:11]
	v_fma_f64 v[10:11], v[16:17], s[4:5], v[10:11]
	;; [unrolled: 1-line block ×4, first 2 shown]
	ds_write_b128 v81, v[0:3] offset:6000
	ds_write_b128 v81, v[8:11] offset:12400
	;; [unrolled: 1-line block ×3, first 2 shown]
.LBB0_26:
	s_or_b64 exec, exec, s[6:7]
	s_waitcnt lgkmcnt(0)
	s_barrier
	s_and_saveexec_b64 s[2:3], s[0:1]
	s_cbranch_execz .LBB0_28
; %bb.27:
	v_lshl_add_u32 v10, v80, 4, v84
	v_mov_b32_e32 v81, 0
	ds_read_b128 v[0:3], v10
	v_mov_b32_e32 v4, s13
	v_add_co_u32_e32 v11, vcc, s12, v82
	v_addc_co_u32_e32 v12, vcc, v4, v83, vcc
	v_lshlrev_b64 v[4:5], 4, v[80:81]
	v_add_co_u32_e32 v8, vcc, v11, v4
	v_addc_co_u32_e32 v9, vcc, v12, v5, vcc
	ds_read_b128 v[4:7], v10 offset:1200
	s_waitcnt lgkmcnt(1)
	global_store_dwordx4 v[8:9], v[0:3], off
	s_nop 0
	v_add_u32_e32 v0, 0x4b, v80
	v_mov_b32_e32 v1, v81
	v_lshlrev_b64 v[0:1], 4, v[0:1]
	v_add_co_u32_e32 v0, vcc, v11, v0
	v_addc_co_u32_e32 v1, vcc, v12, v1, vcc
	s_waitcnt lgkmcnt(0)
	global_store_dwordx4 v[0:1], v[4:7], off
	ds_read_b128 v[0:3], v10 offset:2400
	v_add_u32_e32 v4, 0x96, v80
	v_mov_b32_e32 v5, v81
	v_lshlrev_b64 v[4:5], 4, v[4:5]
	v_add_co_u32_e32 v8, vcc, v11, v4
	v_addc_co_u32_e32 v9, vcc, v12, v5, vcc
	ds_read_b128 v[4:7], v10 offset:3600
	s_waitcnt lgkmcnt(1)
	global_store_dwordx4 v[8:9], v[0:3], off
	s_nop 0
	v_add_u32_e32 v0, 0xe1, v80
	v_mov_b32_e32 v1, v81
	v_lshlrev_b64 v[0:1], 4, v[0:1]
	v_add_co_u32_e32 v0, vcc, v11, v0
	v_addc_co_u32_e32 v1, vcc, v12, v1, vcc
	s_waitcnt lgkmcnt(0)
	global_store_dwordx4 v[0:1], v[4:7], off
	ds_read_b128 v[0:3], v10 offset:4800
	v_add_u32_e32 v4, 0x12c, v80
	v_mov_b32_e32 v5, v81
	;; [unrolled: 17-line block ×7, first 2 shown]
	v_lshlrev_b64 v[4:5], 4, v[4:5]
	v_add_u32_e32 v80, 0x465, v80
	v_add_co_u32_e32 v8, vcc, v11, v4
	v_addc_co_u32_e32 v9, vcc, v12, v5, vcc
	ds_read_b128 v[4:7], v10 offset:18000
	s_waitcnt lgkmcnt(1)
	global_store_dwordx4 v[8:9], v[0:3], off
	s_nop 0
	v_lshlrev_b64 v[0:1], 4, v[80:81]
	v_add_co_u32_e32 v0, vcc, v11, v0
	v_addc_co_u32_e32 v1, vcc, v12, v1, vcc
	s_waitcnt lgkmcnt(0)
	global_store_dwordx4 v[0:1], v[4:7], off
.LBB0_28:
	s_endpgm
	.section	.rodata,"a",@progbits
	.p2align	6, 0x0
	.amdhsa_kernel fft_rtc_back_len1200_factors_5_5_16_3_wgs_225_tpt_75_halfLds_dp_ip_CI_unitstride_sbrr_C2R_dirReg
		.amdhsa_group_segment_fixed_size 0
		.amdhsa_private_segment_fixed_size 0
		.amdhsa_kernarg_size 88
		.amdhsa_user_sgpr_count 6
		.amdhsa_user_sgpr_private_segment_buffer 1
		.amdhsa_user_sgpr_dispatch_ptr 0
		.amdhsa_user_sgpr_queue_ptr 0
		.amdhsa_user_sgpr_kernarg_segment_ptr 1
		.amdhsa_user_sgpr_dispatch_id 0
		.amdhsa_user_sgpr_flat_scratch_init 0
		.amdhsa_user_sgpr_private_segment_size 0
		.amdhsa_uses_dynamic_stack 0
		.amdhsa_system_sgpr_private_segment_wavefront_offset 0
		.amdhsa_system_sgpr_workgroup_id_x 1
		.amdhsa_system_sgpr_workgroup_id_y 0
		.amdhsa_system_sgpr_workgroup_id_z 0
		.amdhsa_system_sgpr_workgroup_info 0
		.amdhsa_system_vgpr_workitem_id 0
		.amdhsa_next_free_vgpr 195
		.amdhsa_next_free_sgpr 22
		.amdhsa_reserve_vcc 1
		.amdhsa_reserve_flat_scratch 0
		.amdhsa_float_round_mode_32 0
		.amdhsa_float_round_mode_16_64 0
		.amdhsa_float_denorm_mode_32 3
		.amdhsa_float_denorm_mode_16_64 3
		.amdhsa_dx10_clamp 1
		.amdhsa_ieee_mode 1
		.amdhsa_fp16_overflow 0
		.amdhsa_exception_fp_ieee_invalid_op 0
		.amdhsa_exception_fp_denorm_src 0
		.amdhsa_exception_fp_ieee_div_zero 0
		.amdhsa_exception_fp_ieee_overflow 0
		.amdhsa_exception_fp_ieee_underflow 0
		.amdhsa_exception_fp_ieee_inexact 0
		.amdhsa_exception_int_div_zero 0
	.end_amdhsa_kernel
	.text
.Lfunc_end0:
	.size	fft_rtc_back_len1200_factors_5_5_16_3_wgs_225_tpt_75_halfLds_dp_ip_CI_unitstride_sbrr_C2R_dirReg, .Lfunc_end0-fft_rtc_back_len1200_factors_5_5_16_3_wgs_225_tpt_75_halfLds_dp_ip_CI_unitstride_sbrr_C2R_dirReg
                                        ; -- End function
	.section	.AMDGPU.csdata,"",@progbits
; Kernel info:
; codeLenInByte = 13532
; NumSgprs: 26
; NumVgprs: 195
; ScratchSize: 0
; MemoryBound: 0
; FloatMode: 240
; IeeeMode: 1
; LDSByteSize: 0 bytes/workgroup (compile time only)
; SGPRBlocks: 3
; VGPRBlocks: 48
; NumSGPRsForWavesPerEU: 26
; NumVGPRsForWavesPerEU: 195
; Occupancy: 1
; WaveLimiterHint : 1
; COMPUTE_PGM_RSRC2:SCRATCH_EN: 0
; COMPUTE_PGM_RSRC2:USER_SGPR: 6
; COMPUTE_PGM_RSRC2:TRAP_HANDLER: 0
; COMPUTE_PGM_RSRC2:TGID_X_EN: 1
; COMPUTE_PGM_RSRC2:TGID_Y_EN: 0
; COMPUTE_PGM_RSRC2:TGID_Z_EN: 0
; COMPUTE_PGM_RSRC2:TIDIG_COMP_CNT: 0
	.type	__hip_cuid_f78197aa0221c4e9,@object ; @__hip_cuid_f78197aa0221c4e9
	.section	.bss,"aw",@nobits
	.globl	__hip_cuid_f78197aa0221c4e9
__hip_cuid_f78197aa0221c4e9:
	.byte	0                               ; 0x0
	.size	__hip_cuid_f78197aa0221c4e9, 1

	.ident	"AMD clang version 19.0.0git (https://github.com/RadeonOpenCompute/llvm-project roc-6.4.0 25133 c7fe45cf4b819c5991fe208aaa96edf142730f1d)"
	.section	".note.GNU-stack","",@progbits
	.addrsig
	.addrsig_sym __hip_cuid_f78197aa0221c4e9
	.amdgpu_metadata
---
amdhsa.kernels:
  - .args:
      - .actual_access:  read_only
        .address_space:  global
        .offset:         0
        .size:           8
        .value_kind:     global_buffer
      - .offset:         8
        .size:           8
        .value_kind:     by_value
      - .actual_access:  read_only
        .address_space:  global
        .offset:         16
        .size:           8
        .value_kind:     global_buffer
      - .actual_access:  read_only
        .address_space:  global
        .offset:         24
        .size:           8
        .value_kind:     global_buffer
      - .offset:         32
        .size:           8
        .value_kind:     by_value
      - .actual_access:  read_only
        .address_space:  global
        .offset:         40
        .size:           8
        .value_kind:     global_buffer
      - .actual_access:  read_only
        .address_space:  global
        .offset:         48
        .size:           8
        .value_kind:     global_buffer
      - .offset:         56
        .size:           4
        .value_kind:     by_value
      - .actual_access:  read_only
        .address_space:  global
        .offset:         64
        .size:           8
        .value_kind:     global_buffer
      - .actual_access:  read_only
        .address_space:  global
        .offset:         72
        .size:           8
        .value_kind:     global_buffer
      - .address_space:  global
        .offset:         80
        .size:           8
        .value_kind:     global_buffer
    .group_segment_fixed_size: 0
    .kernarg_segment_align: 8
    .kernarg_segment_size: 88
    .language:       OpenCL C
    .language_version:
      - 2
      - 0
    .max_flat_workgroup_size: 225
    .name:           fft_rtc_back_len1200_factors_5_5_16_3_wgs_225_tpt_75_halfLds_dp_ip_CI_unitstride_sbrr_C2R_dirReg
    .private_segment_fixed_size: 0
    .sgpr_count:     26
    .sgpr_spill_count: 0
    .symbol:         fft_rtc_back_len1200_factors_5_5_16_3_wgs_225_tpt_75_halfLds_dp_ip_CI_unitstride_sbrr_C2R_dirReg.kd
    .uniform_work_group_size: 1
    .uses_dynamic_stack: false
    .vgpr_count:     195
    .vgpr_spill_count: 0
    .wavefront_size: 64
amdhsa.target:   amdgcn-amd-amdhsa--gfx906
amdhsa.version:
  - 1
  - 2
...

	.end_amdgpu_metadata
